;; amdgpu-corpus repo=ROCm/rocFFT kind=compiled arch=gfx1201 opt=O3
	.text
	.amdgcn_target "amdgcn-amd-amdhsa--gfx1201"
	.amdhsa_code_object_version 6
	.protected	fft_rtc_back_len480_factors_10_8_6_wgs_64_tpt_16_halfLds_half_op_CI_CI_unitstride_sbrr_C2R_dirReg ; -- Begin function fft_rtc_back_len480_factors_10_8_6_wgs_64_tpt_16_halfLds_half_op_CI_CI_unitstride_sbrr_C2R_dirReg
	.globl	fft_rtc_back_len480_factors_10_8_6_wgs_64_tpt_16_halfLds_half_op_CI_CI_unitstride_sbrr_C2R_dirReg
	.p2align	8
	.type	fft_rtc_back_len480_factors_10_8_6_wgs_64_tpt_16_halfLds_half_op_CI_CI_unitstride_sbrr_C2R_dirReg,@function
fft_rtc_back_len480_factors_10_8_6_wgs_64_tpt_16_halfLds_half_op_CI_CI_unitstride_sbrr_C2R_dirReg: ; @fft_rtc_back_len480_factors_10_8_6_wgs_64_tpt_16_halfLds_half_op_CI_CI_unitstride_sbrr_C2R_dirReg
; %bb.0:
	s_clause 0x2
	s_load_b128 s[8:11], s[0:1], 0x0
	s_load_b128 s[4:7], s[0:1], 0x58
	;; [unrolled: 1-line block ×3, first 2 shown]
	v_lshrrev_b32_e32 v11, 4, v0
	v_mov_b32_e32 v1, 0
	v_mov_b32_e32 v7, 0
	;; [unrolled: 1-line block ×3, first 2 shown]
	s_delay_alu instid0(VALU_DEP_4) | instskip(NEXT) | instid1(VALU_DEP_4)
	v_lshl_or_b32 v9, ttmp9, 2, v11
	v_mov_b32_e32 v10, v1
	s_wait_kmcnt 0x0
	v_cmp_lt_u64_e64 s2, s[10:11], 2
	s_delay_alu instid0(VALU_DEP_1)
	s_and_b32 vcc_lo, exec_lo, s2
	s_cbranch_vccnz .LBB0_8
; %bb.1:
	s_load_b64 s[2:3], s[0:1], 0x10
	v_mov_b32_e32 v7, 0
	v_mov_b32_e32 v8, 0
	s_delay_alu instid0(VALU_DEP_2)
	v_mov_b32_e32 v3, v7
	s_add_nc_u64 s[16:17], s[14:15], 8
	s_add_nc_u64 s[18:19], s[12:13], 8
	s_mov_b64 s[20:21], 1
	v_mov_b32_e32 v4, v8
	s_wait_kmcnt 0x0
	s_add_nc_u64 s[22:23], s[2:3], 8
	s_mov_b32 s3, 0
.LBB0_2:                                ; =>This Inner Loop Header: Depth=1
	s_load_b64 s[24:25], s[22:23], 0x0
                                        ; implicit-def: $vgpr5_vgpr6
	s_mov_b32 s2, exec_lo
	s_wait_kmcnt 0x0
	v_or_b32_e32 v2, s25, v10
	s_delay_alu instid0(VALU_DEP_1)
	v_cmpx_ne_u64_e32 0, v[1:2]
	s_wait_alu 0xfffe
	s_xor_b32 s26, exec_lo, s2
	s_cbranch_execz .LBB0_4
; %bb.3:                                ;   in Loop: Header=BB0_2 Depth=1
	s_cvt_f32_u32 s2, s24
	s_cvt_f32_u32 s27, s25
	s_sub_nc_u64 s[30:31], 0, s[24:25]
	s_wait_alu 0xfffe
	s_delay_alu instid0(SALU_CYCLE_1) | instskip(SKIP_1) | instid1(SALU_CYCLE_2)
	s_fmamk_f32 s2, s27, 0x4f800000, s2
	s_wait_alu 0xfffe
	v_s_rcp_f32 s2, s2
	s_delay_alu instid0(TRANS32_DEP_1) | instskip(SKIP_1) | instid1(SALU_CYCLE_2)
	s_mul_f32 s2, s2, 0x5f7ffffc
	s_wait_alu 0xfffe
	s_mul_f32 s27, s2, 0x2f800000
	s_wait_alu 0xfffe
	s_delay_alu instid0(SALU_CYCLE_2) | instskip(SKIP_1) | instid1(SALU_CYCLE_2)
	s_trunc_f32 s27, s27
	s_wait_alu 0xfffe
	s_fmamk_f32 s2, s27, 0xcf800000, s2
	s_cvt_u32_f32 s29, s27
	s_wait_alu 0xfffe
	s_delay_alu instid0(SALU_CYCLE_1) | instskip(SKIP_1) | instid1(SALU_CYCLE_2)
	s_cvt_u32_f32 s28, s2
	s_wait_alu 0xfffe
	s_mul_u64 s[34:35], s[30:31], s[28:29]
	s_wait_alu 0xfffe
	s_mul_hi_u32 s37, s28, s35
	s_mul_i32 s36, s28, s35
	s_mul_hi_u32 s2, s28, s34
	s_mul_i32 s33, s29, s34
	s_wait_alu 0xfffe
	s_add_nc_u64 s[36:37], s[2:3], s[36:37]
	s_mul_hi_u32 s27, s29, s34
	s_mul_hi_u32 s38, s29, s35
	s_add_co_u32 s2, s36, s33
	s_wait_alu 0xfffe
	s_add_co_ci_u32 s2, s37, s27
	s_mul_i32 s34, s29, s35
	s_add_co_ci_u32 s35, s38, 0
	s_wait_alu 0xfffe
	s_add_nc_u64 s[34:35], s[2:3], s[34:35]
	s_wait_alu 0xfffe
	v_add_co_u32 v2, s2, s28, s34
	s_delay_alu instid0(VALU_DEP_1) | instskip(SKIP_1) | instid1(VALU_DEP_1)
	s_cmp_lg_u32 s2, 0
	s_add_co_ci_u32 s29, s29, s35
	v_readfirstlane_b32 s28, v2
	s_wait_alu 0xfffe
	s_delay_alu instid0(VALU_DEP_1)
	s_mul_u64 s[30:31], s[30:31], s[28:29]
	s_wait_alu 0xfffe
	s_mul_hi_u32 s35, s28, s31
	s_mul_i32 s34, s28, s31
	s_mul_hi_u32 s2, s28, s30
	s_mul_i32 s33, s29, s30
	s_wait_alu 0xfffe
	s_add_nc_u64 s[34:35], s[2:3], s[34:35]
	s_mul_hi_u32 s27, s29, s30
	s_mul_hi_u32 s28, s29, s31
	s_wait_alu 0xfffe
	s_add_co_u32 s2, s34, s33
	s_add_co_ci_u32 s2, s35, s27
	s_mul_i32 s30, s29, s31
	s_add_co_ci_u32 s31, s28, 0
	s_wait_alu 0xfffe
	s_add_nc_u64 s[30:31], s[2:3], s[30:31]
	s_wait_alu 0xfffe
	v_add_co_u32 v2, s2, v2, s30
	s_delay_alu instid0(VALU_DEP_1) | instskip(SKIP_1) | instid1(VALU_DEP_1)
	s_cmp_lg_u32 s2, 0
	s_add_co_ci_u32 s2, s29, s31
	v_mul_hi_u32 v16, v9, v2
	s_wait_alu 0xfffe
	v_mad_co_u64_u32 v[5:6], null, v9, s2, 0
	v_mad_co_u64_u32 v[12:13], null, v10, v2, 0
	;; [unrolled: 1-line block ×3, first 2 shown]
	s_delay_alu instid0(VALU_DEP_3) | instskip(SKIP_1) | instid1(VALU_DEP_4)
	v_add_co_u32 v2, vcc_lo, v16, v5
	s_wait_alu 0xfffd
	v_add_co_ci_u32_e32 v5, vcc_lo, 0, v6, vcc_lo
	s_delay_alu instid0(VALU_DEP_2) | instskip(SKIP_1) | instid1(VALU_DEP_2)
	v_add_co_u32 v2, vcc_lo, v2, v12
	s_wait_alu 0xfffd
	v_add_co_ci_u32_e32 v2, vcc_lo, v5, v13, vcc_lo
	s_wait_alu 0xfffd
	v_add_co_ci_u32_e32 v5, vcc_lo, 0, v15, vcc_lo
	s_delay_alu instid0(VALU_DEP_2) | instskip(SKIP_1) | instid1(VALU_DEP_2)
	v_add_co_u32 v2, vcc_lo, v2, v14
	s_wait_alu 0xfffd
	v_add_co_ci_u32_e32 v12, vcc_lo, 0, v5, vcc_lo
	s_delay_alu instid0(VALU_DEP_2) | instskip(SKIP_1) | instid1(VALU_DEP_3)
	v_mul_lo_u32 v13, s25, v2
	v_mad_co_u64_u32 v[5:6], null, s24, v2, 0
	v_mul_lo_u32 v14, s24, v12
	s_delay_alu instid0(VALU_DEP_2) | instskip(NEXT) | instid1(VALU_DEP_2)
	v_sub_co_u32 v5, vcc_lo, v9, v5
	v_add3_u32 v6, v6, v14, v13
	s_delay_alu instid0(VALU_DEP_1) | instskip(SKIP_1) | instid1(VALU_DEP_1)
	v_sub_nc_u32_e32 v13, v10, v6
	s_wait_alu 0xfffd
	v_subrev_co_ci_u32_e64 v13, s2, s25, v13, vcc_lo
	v_add_co_u32 v14, s2, v2, 2
	s_wait_alu 0xf1ff
	v_add_co_ci_u32_e64 v15, s2, 0, v12, s2
	v_sub_co_u32 v16, s2, v5, s24
	v_sub_co_ci_u32_e32 v6, vcc_lo, v10, v6, vcc_lo
	s_wait_alu 0xf1ff
	v_subrev_co_ci_u32_e64 v13, s2, 0, v13, s2
	s_delay_alu instid0(VALU_DEP_3) | instskip(NEXT) | instid1(VALU_DEP_3)
	v_cmp_le_u32_e32 vcc_lo, s24, v16
	v_cmp_eq_u32_e64 s2, s25, v6
	s_wait_alu 0xfffd
	v_cndmask_b32_e64 v16, 0, -1, vcc_lo
	v_cmp_le_u32_e32 vcc_lo, s25, v13
	s_wait_alu 0xfffd
	v_cndmask_b32_e64 v17, 0, -1, vcc_lo
	v_cmp_le_u32_e32 vcc_lo, s24, v5
	;; [unrolled: 3-line block ×3, first 2 shown]
	s_wait_alu 0xfffd
	v_cndmask_b32_e64 v18, 0, -1, vcc_lo
	v_cmp_eq_u32_e32 vcc_lo, s25, v13
	s_wait_alu 0xf1ff
	s_delay_alu instid0(VALU_DEP_2)
	v_cndmask_b32_e64 v5, v18, v5, s2
	s_wait_alu 0xfffd
	v_cndmask_b32_e32 v13, v17, v16, vcc_lo
	v_add_co_u32 v16, vcc_lo, v2, 1
	s_wait_alu 0xfffd
	v_add_co_ci_u32_e32 v17, vcc_lo, 0, v12, vcc_lo
	s_delay_alu instid0(VALU_DEP_3) | instskip(SKIP_1) | instid1(VALU_DEP_2)
	v_cmp_ne_u32_e32 vcc_lo, 0, v13
	s_wait_alu 0xfffd
	v_dual_cndmask_b32 v6, v17, v15 :: v_dual_cndmask_b32 v13, v16, v14
	v_cmp_ne_u32_e32 vcc_lo, 0, v5
	s_wait_alu 0xfffd
	s_delay_alu instid0(VALU_DEP_2)
	v_dual_cndmask_b32 v6, v12, v6 :: v_dual_cndmask_b32 v5, v2, v13
.LBB0_4:                                ;   in Loop: Header=BB0_2 Depth=1
	s_wait_alu 0xfffe
	s_and_not1_saveexec_b32 s2, s26
	s_cbranch_execz .LBB0_6
; %bb.5:                                ;   in Loop: Header=BB0_2 Depth=1
	v_cvt_f32_u32_e32 v2, s24
	s_sub_co_i32 s26, 0, s24
	s_delay_alu instid0(VALU_DEP_1) | instskip(NEXT) | instid1(TRANS32_DEP_1)
	v_rcp_iflag_f32_e32 v2, v2
	v_mul_f32_e32 v2, 0x4f7ffffe, v2
	s_delay_alu instid0(VALU_DEP_1) | instskip(SKIP_1) | instid1(VALU_DEP_1)
	v_cvt_u32_f32_e32 v2, v2
	s_wait_alu 0xfffe
	v_mul_lo_u32 v5, s26, v2
	s_delay_alu instid0(VALU_DEP_1) | instskip(NEXT) | instid1(VALU_DEP_1)
	v_mul_hi_u32 v5, v2, v5
	v_add_nc_u32_e32 v2, v2, v5
	s_delay_alu instid0(VALU_DEP_1) | instskip(NEXT) | instid1(VALU_DEP_1)
	v_mul_hi_u32 v2, v9, v2
	v_mul_lo_u32 v5, v2, s24
	v_add_nc_u32_e32 v6, 1, v2
	s_delay_alu instid0(VALU_DEP_2) | instskip(NEXT) | instid1(VALU_DEP_1)
	v_sub_nc_u32_e32 v5, v9, v5
	v_subrev_nc_u32_e32 v12, s24, v5
	v_cmp_le_u32_e32 vcc_lo, s24, v5
	s_wait_alu 0xfffd
	s_delay_alu instid0(VALU_DEP_2) | instskip(NEXT) | instid1(VALU_DEP_1)
	v_dual_cndmask_b32 v5, v5, v12 :: v_dual_cndmask_b32 v2, v2, v6
	v_cmp_le_u32_e32 vcc_lo, s24, v5
	s_delay_alu instid0(VALU_DEP_2) | instskip(SKIP_1) | instid1(VALU_DEP_1)
	v_add_nc_u32_e32 v6, 1, v2
	s_wait_alu 0xfffd
	v_dual_cndmask_b32 v5, v2, v6 :: v_dual_mov_b32 v6, v1
.LBB0_6:                                ;   in Loop: Header=BB0_2 Depth=1
	s_wait_alu 0xfffe
	s_or_b32 exec_lo, exec_lo, s2
	s_delay_alu instid0(VALU_DEP_1) | instskip(NEXT) | instid1(VALU_DEP_2)
	v_mul_lo_u32 v2, v6, s24
	v_mul_lo_u32 v14, v5, s25
	s_load_b64 s[26:27], s[18:19], 0x0
	v_mad_co_u64_u32 v[12:13], null, v5, s24, 0
	s_load_b64 s[24:25], s[16:17], 0x0
	s_add_nc_u64 s[20:21], s[20:21], 1
	s_add_nc_u64 s[16:17], s[16:17], 8
	s_wait_alu 0xfffe
	v_cmp_ge_u64_e64 s2, s[20:21], s[10:11]
	s_add_nc_u64 s[18:19], s[18:19], 8
	s_add_nc_u64 s[22:23], s[22:23], 8
	v_add3_u32 v2, v13, v14, v2
	v_sub_co_u32 v9, vcc_lo, v9, v12
	s_wait_alu 0xfffd
	s_delay_alu instid0(VALU_DEP_2) | instskip(SKIP_2) | instid1(VALU_DEP_1)
	v_sub_co_ci_u32_e32 v2, vcc_lo, v10, v2, vcc_lo
	s_and_b32 vcc_lo, exec_lo, s2
	s_wait_kmcnt 0x0
	v_mul_lo_u32 v10, s26, v2
	v_mul_lo_u32 v12, s27, v9
	v_mad_co_u64_u32 v[7:8], null, s26, v9, v[7:8]
	v_mul_lo_u32 v2, s24, v2
	v_mul_lo_u32 v13, s25, v9
	v_mad_co_u64_u32 v[3:4], null, s24, v9, v[3:4]
	s_delay_alu instid0(VALU_DEP_4) | instskip(NEXT) | instid1(VALU_DEP_2)
	v_add3_u32 v8, v12, v8, v10
	v_add3_u32 v4, v13, v4, v2
	s_wait_alu 0xfffe
	s_cbranch_vccnz .LBB0_9
; %bb.7:                                ;   in Loop: Header=BB0_2 Depth=1
	v_dual_mov_b32 v10, v6 :: v_dual_mov_b32 v9, v5
	s_branch .LBB0_2
.LBB0_8:
	v_dual_mov_b32 v3, v7 :: v_dual_mov_b32 v4, v8
	v_dual_mov_b32 v5, v9 :: v_dual_mov_b32 v6, v10
.LBB0_9:
	s_load_b64 s[0:1], s[0:1], 0x28
	v_and_b32_e32 v1, 15, v0
	s_lshl_b64 s[10:11], s[10:11], 3
	s_wait_alu 0xfffe
	s_add_nc_u64 s[2:3], s[14:15], s[10:11]
	s_wait_kmcnt 0x0
	v_cmp_gt_u64_e32 vcc_lo, s[0:1], v[5:6]
	v_cmp_le_u64_e64 s0, s[0:1], v[5:6]
	s_delay_alu instid0(VALU_DEP_1)
	s_and_saveexec_b32 s1, s0
	s_wait_alu 0xfffe
	s_xor_b32 s0, exec_lo, s1
; %bb.10:
	v_and_b32_e32 v1, 15, v0
                                        ; implicit-def: $vgpr7_vgpr8
; %bb.11:
	s_wait_alu 0xfffe
	s_or_saveexec_b32 s1, s0
	s_load_b64 s[2:3], s[2:3], 0x0
	v_mul_u32_u24_e32 v37, 0x1e1, v11
	s_delay_alu instid0(VALU_DEP_1)
	v_lshlrev_b32_e32 v39, 2, v37
	s_xor_b32 exec_lo, exec_lo, s1
	s_cbranch_execz .LBB0_15
; %bb.12:
	s_add_nc_u64 s[10:11], s[12:13], s[10:11]
	v_lshlrev_b64_e32 v[7:8], 2, v[7:8]
	s_load_b64 s[10:11], s[10:11], 0x0
	v_lshlrev_b32_e32 v11, 2, v1
	s_wait_kmcnt 0x0
	v_mul_lo_u32 v0, s11, v5
	v_mul_lo_u32 v2, s10, v6
	v_mad_co_u64_u32 v[9:10], null, s10, v5, 0
	s_delay_alu instid0(VALU_DEP_1) | instskip(NEXT) | instid1(VALU_DEP_1)
	v_add3_u32 v10, v10, v2, v0
	v_lshlrev_b64_e32 v[9:10], 2, v[9:10]
	s_delay_alu instid0(VALU_DEP_1) | instskip(SKIP_1) | instid1(VALU_DEP_2)
	v_add_co_u32 v0, s0, s4, v9
	s_wait_alu 0xf1ff
	v_add_co_ci_u32_e64 v2, s0, s5, v10, s0
	s_mov_b32 s4, exec_lo
	s_delay_alu instid0(VALU_DEP_2) | instskip(SKIP_1) | instid1(VALU_DEP_2)
	v_add_co_u32 v7, s0, v0, v7
	s_wait_alu 0xf1ff
	v_add_co_ci_u32_e64 v8, s0, v2, v8, s0
	v_add3_u32 v0, 0, v39, v11
	s_delay_alu instid0(VALU_DEP_3) | instskip(SKIP_1) | instid1(VALU_DEP_3)
	v_add_co_u32 v9, s0, v7, v11
	s_wait_alu 0xf1ff
	v_add_co_ci_u32_e64 v10, s0, 0, v8, s0
	s_clause 0x1d
	global_load_b32 v2, v[9:10], off
	global_load_b32 v12, v[9:10], off offset:64
	global_load_b32 v13, v[9:10], off offset:128
	;; [unrolled: 1-line block ×29, first 2 shown]
	v_add_nc_u32_e32 v10, 0x400, v0
	s_wait_loadcnt 0x1c
	ds_store_2addr_b32 v0, v2, v12 offset1:16
	s_wait_loadcnt 0x1a
	ds_store_2addr_b32 v0, v13, v14 offset0:32 offset1:48
	s_wait_loadcnt 0x18
	ds_store_2addr_b32 v0, v15, v16 offset0:64 offset1:80
	s_wait_loadcnt 0x16
	ds_store_2addr_b32 v0, v17, v18 offset0:96 offset1:112
	s_wait_loadcnt 0x14
	ds_store_2addr_b32 v0, v19, v20 offset0:128 offset1:144
	s_wait_loadcnt 0x12
	ds_store_2addr_b32 v0, v21, v22 offset0:160 offset1:176
	s_wait_loadcnt 0x10
	ds_store_2addr_b32 v0, v23, v24 offset0:192 offset1:208
	s_wait_loadcnt 0xe
	ds_store_2addr_b32 v0, v25, v26 offset0:224 offset1:240
	s_wait_loadcnt 0xc
	ds_store_2addr_b32 v10, v27, v28 offset1:16
	s_wait_loadcnt 0xa
	ds_store_2addr_b32 v10, v29, v30 offset0:32 offset1:48
	s_wait_loadcnt 0x8
	ds_store_2addr_b32 v10, v31, v32 offset0:64 offset1:80
	;; [unrolled: 2-line block ×6, first 2 shown]
	v_cmpx_eq_u32_e32 15, v1
	s_cbranch_execz .LBB0_14
; %bb.13:
	global_load_b32 v2, v[7:8], off offset:1920
	v_mov_b32_e32 v1, 15
	s_wait_loadcnt 0x0
	ds_store_b32 v0, v2 offset:1860
.LBB0_14:
	s_wait_alu 0xfffe
	s_or_b32 exec_lo, exec_lo, s4
.LBB0_15:
	s_delay_alu instid0(SALU_CYCLE_1)
	s_or_b32 exec_lo, exec_lo, s1
	v_lshl_add_u32 v0, v37, 2, 0
	v_lshlrev_b32_e32 v2, 2, v1
	global_wb scope:SCOPE_SE
	s_wait_dscnt 0x0
	s_wait_kmcnt 0x0
	s_barrier_signal -1
	s_barrier_wait -1
	global_inv scope:SCOPE_SE
	v_add_nc_u32_e32 v38, v0, v2
	v_sub_nc_u32_e32 v9, v0, v2
	s_mov_b32 s1, exec_lo
                                        ; implicit-def: $vgpr7_vgpr8
	ds_load_u16 v12, v38
	ds_load_u16 v13, v9 offset:1920
	s_wait_dscnt 0x0
	v_add_f16_e32 v11, v13, v12
	v_sub_f16_e32 v10, v12, v13
	v_cmpx_ne_u32_e32 0, v1
	s_wait_alu 0xfffe
	s_xor_b32 s1, exec_lo, s1
	s_cbranch_execz .LBB0_17
; %bb.16:
	v_mov_b32_e32 v2, 0
	v_add_f16_e32 v11, v13, v12
	v_sub_f16_e32 v12, v12, v13
	s_delay_alu instid0(VALU_DEP_3) | instskip(NEXT) | instid1(VALU_DEP_1)
	v_lshlrev_b64_e32 v[7:8], 2, v[1:2]
	v_add_co_u32 v7, s0, s8, v7
	s_wait_alu 0xf1ff
	s_delay_alu instid0(VALU_DEP_2)
	v_add_co_ci_u32_e64 v8, s0, s9, v8, s0
	global_load_b32 v7, v[7:8], off offset:1880
	ds_load_u16 v8, v9 offset:1922
	ds_load_u16 v10, v38 offset:2
	s_wait_dscnt 0x0
	v_add_f16_e32 v13, v8, v10
	v_sub_f16_e32 v8, v10, v8
	s_wait_loadcnt 0x0
	v_lshrrev_b32_e32 v14, 16, v7
	s_delay_alu instid0(VALU_DEP_1) | instskip(NEXT) | instid1(VALU_DEP_3)
	v_fma_f16 v15, -v12, v14, v11
	v_fma_f16 v16, v13, v14, -v8
	v_fma_f16 v10, v13, v14, v8
	v_fma_f16 v11, v12, v14, v11
	s_delay_alu instid0(VALU_DEP_4) | instskip(NEXT) | instid1(VALU_DEP_4)
	v_fmac_f16_e32 v15, v7, v13
	v_fmac_f16_e32 v16, v12, v7
	s_delay_alu instid0(VALU_DEP_4) | instskip(NEXT) | instid1(VALU_DEP_4)
	v_fmac_f16_e32 v10, v12, v7
	v_fma_f16 v11, -v7, v13, v11
	v_dual_mov_b32 v8, v2 :: v_dual_mov_b32 v7, v1
	s_delay_alu instid0(VALU_DEP_4)
	v_pack_b32_f16 v12, v15, v16
	ds_store_b32 v9, v12 offset:1920
.LBB0_17:
	s_wait_alu 0xfffe
	s_and_not1_saveexec_b32 s0, s1
	s_cbranch_execz .LBB0_19
; %bb.18:
	ds_load_b32 v2, v0 offset:960
	v_mov_b32_e32 v7, 0
	v_mov_b32_e32 v8, 0
	s_wait_dscnt 0x0
	v_pk_mul_f16 v2, 0xc0004000, v2
	ds_store_b32 v0, v2 offset:960
.LBB0_19:
	s_wait_alu 0xfffe
	s_or_b32 exec_lo, exec_lo, s0
	v_lshlrev_b64_e32 v[7:8], 2, v[7:8]
	s_add_nc_u64 s[0:1], s[8:9], 0x758
	v_perm_b32 v10, v10, v11, 0x5040100
	s_wait_alu 0xfffe
	s_delay_alu instid0(VALU_DEP_2)
	v_add_co_u32 v7, s0, s0, v7
	s_wait_alu 0xf1ff
	v_add_co_ci_u32_e64 v8, s0, s1, v8, s0
	v_cmp_gt_u32_e64 s0, 12, v1
	s_clause 0x5
	global_load_b32 v2, v[7:8], off offset:64
	global_load_b32 v12, v[7:8], off offset:128
	;; [unrolled: 1-line block ×6, first 2 shown]
	ds_store_b32 v38, v10
	global_load_b32 v10, v[7:8], off offset:448
	ds_load_b32 v11, v38 offset:64
	ds_load_b32 v17, v9 offset:1856
	global_load_b32 v20, v[7:8], off offset:512
	s_wait_dscnt 0x1
	v_lshrrev_b32_e32 v18, 16, v11
	s_wait_dscnt 0x0
	v_lshrrev_b32_e32 v19, 16, v17
	v_add_f16_e32 v21, v11, v17
	v_sub_f16_e32 v11, v11, v17
	s_delay_alu instid0(VALU_DEP_3) | instskip(SKIP_3) | instid1(VALU_DEP_1)
	v_add_f16_e32 v17, v19, v18
	v_sub_f16_e32 v18, v18, v19
	s_wait_loadcnt 0x7
	v_lshrrev_b32_e32 v22, 16, v2
	v_fma_f16 v19, v11, v22, v21
	s_delay_alu instid0(VALU_DEP_3) | instskip(SKIP_2) | instid1(VALU_DEP_4)
	v_fma_f16 v23, v17, v22, v18
	v_fma_f16 v21, -v11, v22, v21
	v_fma_f16 v18, v17, v22, -v18
	v_fma_f16 v19, -v2, v17, v19
	s_delay_alu instid0(VALU_DEP_4) | instskip(NEXT) | instid1(VALU_DEP_4)
	v_fmac_f16_e32 v23, v11, v2
	v_fmac_f16_e32 v21, v2, v17
	s_delay_alu instid0(VALU_DEP_4) | instskip(NEXT) | instid1(VALU_DEP_3)
	v_fmac_f16_e32 v18, v11, v2
	v_pack_b32_f16 v2, v19, v23
	s_wait_loadcnt 0x6
	v_lshrrev_b32_e32 v19, 16, v12
	s_delay_alu instid0(VALU_DEP_3)
	v_pack_b32_f16 v11, v21, v18
	ds_store_b32 v38, v2 offset:64
	ds_store_b32 v9, v11 offset:1856
	ds_load_b32 v2, v38 offset:128
	ds_load_b32 v11, v9 offset:1792
	s_wait_dscnt 0x1
	v_lshrrev_b32_e32 v17, 16, v2
	s_wait_dscnt 0x0
	v_lshrrev_b32_e32 v18, 16, v11
	v_add_f16_e32 v21, v2, v11
	v_sub_f16_e32 v2, v2, v11
	s_delay_alu instid0(VALU_DEP_3) | instskip(SKIP_1) | instid1(VALU_DEP_3)
	v_add_f16_e32 v11, v18, v17
	v_sub_f16_e32 v17, v17, v18
	v_fma_f16 v18, v2, v19, v21
	v_fma_f16 v21, -v2, v19, v21
	s_delay_alu instid0(VALU_DEP_3) | instskip(SKIP_1) | instid1(VALU_DEP_4)
	v_fma_f16 v22, v11, v19, v17
	v_fma_f16 v17, v11, v19, -v17
	v_fma_f16 v18, -v12, v11, v18
	s_delay_alu instid0(VALU_DEP_4)
	v_fmac_f16_e32 v21, v12, v11
	s_wait_loadcnt 0x5
	v_lshrrev_b32_e32 v19, 16, v13
	v_fmac_f16_e32 v22, v2, v12
	v_fmac_f16_e32 v17, v2, v12
	global_load_b32 v12, v[7:8], off offset:576
	v_pack_b32_f16 v2, v18, v22
	v_pack_b32_f16 v11, v21, v17
	ds_store_b32 v38, v2 offset:128
	ds_store_b32 v9, v11 offset:1792
	ds_load_b32 v2, v38 offset:192
	ds_load_b32 v11, v9 offset:1728
	s_wait_dscnt 0x1
	v_lshrrev_b32_e32 v17, 16, v2
	s_wait_dscnt 0x0
	v_lshrrev_b32_e32 v18, 16, v11
	v_add_f16_e32 v21, v2, v11
	v_sub_f16_e32 v2, v2, v11
	s_delay_alu instid0(VALU_DEP_3) | instskip(SKIP_1) | instid1(VALU_DEP_3)
	v_add_f16_e32 v11, v18, v17
	v_sub_f16_e32 v17, v17, v18
	v_fma_f16 v18, v2, v19, v21
	v_fma_f16 v21, -v2, v19, v21
	s_delay_alu instid0(VALU_DEP_3) | instskip(SKIP_1) | instid1(VALU_DEP_4)
	v_fma_f16 v22, v11, v19, v17
	v_fma_f16 v17, v11, v19, -v17
	v_fma_f16 v18, -v13, v11, v18
	s_delay_alu instid0(VALU_DEP_4)
	v_fmac_f16_e32 v21, v13, v11
	s_wait_loadcnt 0x5
	v_lshrrev_b32_e32 v19, 16, v14
	v_fmac_f16_e32 v22, v2, v13
	v_fmac_f16_e32 v17, v2, v13
	global_load_b32 v13, v[7:8], off offset:640
	v_pack_b32_f16 v2, v18, v22
	;; [unrolled: 28-line block ×5, first 2 shown]
	v_pack_b32_f16 v11, v21, v17
	ds_store_b32 v38, v2 offset:384
	ds_store_b32 v9, v11 offset:1536
	ds_load_b32 v2, v38 offset:448
	ds_load_b32 v11, v9 offset:1472
	global_load_b32 v7, v[7:8], off offset:896
	s_wait_dscnt 0x1
	v_lshrrev_b32_e32 v17, 16, v2
	s_wait_dscnt 0x0
	v_lshrrev_b32_e32 v18, 16, v11
	v_add_f16_e32 v21, v2, v11
	v_sub_f16_e32 v2, v2, v11
	s_delay_alu instid0(VALU_DEP_3) | instskip(SKIP_1) | instid1(VALU_DEP_3)
	v_add_f16_e32 v11, v18, v17
	v_sub_f16_e32 v17, v17, v18
	v_fma_f16 v18, v2, v19, v21
	v_fma_f16 v21, -v2, v19, v21
	s_delay_alu instid0(VALU_DEP_3) | instskip(SKIP_1) | instid1(VALU_DEP_4)
	v_fma_f16 v22, v11, v19, v17
	v_fma_f16 v17, v11, v19, -v17
	v_fma_f16 v18, -v10, v11, v18
	s_delay_alu instid0(VALU_DEP_4) | instskip(NEXT) | instid1(VALU_DEP_4)
	v_fmac_f16_e32 v21, v10, v11
	v_fmac_f16_e32 v22, v2, v10
	s_delay_alu instid0(VALU_DEP_4) | instskip(NEXT) | instid1(VALU_DEP_2)
	v_fmac_f16_e32 v17, v2, v10
	v_pack_b32_f16 v2, v18, v22
	s_delay_alu instid0(VALU_DEP_2)
	v_pack_b32_f16 v10, v21, v17
	ds_store_b32 v38, v2 offset:448
	ds_store_b32 v9, v10 offset:1472
	ds_load_b32 v2, v38 offset:512
	ds_load_b32 v8, v9 offset:1408
	s_wait_loadcnt 0x6
	v_lshrrev_b32_e32 v17, 16, v20
	s_wait_dscnt 0x1
	v_lshrrev_b32_e32 v10, 16, v2
	s_wait_dscnt 0x0
	v_lshrrev_b32_e32 v11, 16, v8
	v_add_f16_e32 v18, v2, v8
	v_sub_f16_e32 v2, v2, v8
	s_delay_alu instid0(VALU_DEP_3) | instskip(SKIP_1) | instid1(VALU_DEP_3)
	v_add_f16_e32 v8, v11, v10
	v_sub_f16_e32 v10, v10, v11
	v_fma_f16 v11, v2, v17, v18
	v_fma_f16 v18, -v2, v17, v18
	s_delay_alu instid0(VALU_DEP_3) | instskip(SKIP_1) | instid1(VALU_DEP_4)
	v_fma_f16 v19, v8, v17, v10
	v_fma_f16 v10, v8, v17, -v10
	v_fma_f16 v11, -v20, v8, v11
	s_delay_alu instid0(VALU_DEP_4) | instskip(NEXT) | instid1(VALU_DEP_4)
	v_fmac_f16_e32 v18, v20, v8
	v_fmac_f16_e32 v19, v2, v20
	s_delay_alu instid0(VALU_DEP_4) | instskip(NEXT) | instid1(VALU_DEP_2)
	v_fmac_f16_e32 v10, v2, v20
	v_pack_b32_f16 v2, v11, v19
	s_delay_alu instid0(VALU_DEP_2)
	v_pack_b32_f16 v8, v18, v10
	ds_store_b32 v38, v2 offset:512
	ds_store_b32 v9, v8 offset:1408
	ds_load_b32 v2, v38 offset:576
	ds_load_b32 v8, v9 offset:1344
	s_wait_dscnt 0x1
	v_lshrrev_b32_e32 v10, 16, v2
	s_wait_dscnt 0x0
	v_lshrrev_b32_e32 v11, 16, v8
	v_add_f16_e32 v18, v2, v8
	v_sub_f16_e32 v2, v2, v8
	s_delay_alu instid0(VALU_DEP_3) | instskip(SKIP_3) | instid1(VALU_DEP_1)
	v_add_f16_e32 v8, v11, v10
	v_sub_f16_e32 v10, v10, v11
	s_wait_loadcnt 0x5
	v_lshrrev_b32_e32 v17, 16, v12
	v_fma_f16 v11, v2, v17, v18
	s_delay_alu instid0(VALU_DEP_3) | instskip(SKIP_2) | instid1(VALU_DEP_4)
	v_fma_f16 v19, v8, v17, v10
	v_fma_f16 v18, -v2, v17, v18
	v_fma_f16 v10, v8, v17, -v10
	v_fma_f16 v11, -v12, v8, v11
	s_delay_alu instid0(VALU_DEP_4) | instskip(NEXT) | instid1(VALU_DEP_4)
	v_fmac_f16_e32 v19, v2, v12
	v_fmac_f16_e32 v18, v12, v8
	s_delay_alu instid0(VALU_DEP_4) | instskip(NEXT) | instid1(VALU_DEP_3)
	v_fmac_f16_e32 v10, v2, v12
	v_pack_b32_f16 v2, v11, v19
	s_delay_alu instid0(VALU_DEP_2)
	v_pack_b32_f16 v8, v18, v10
	ds_store_b32 v38, v2 offset:576
	ds_store_b32 v9, v8 offset:1344
	ds_load_b32 v2, v38 offset:640
	ds_load_b32 v8, v9 offset:1280
	s_wait_dscnt 0x1
	v_lshrrev_b32_e32 v10, 16, v2
	s_wait_dscnt 0x0
	v_lshrrev_b32_e32 v11, 16, v8
	v_add_f16_e32 v17, v2, v8
	v_sub_f16_e32 v2, v2, v8
	s_wait_loadcnt 0x4
	v_lshrrev_b32_e32 v12, 16, v13
	v_add_f16_e32 v8, v11, v10
	v_sub_f16_e32 v10, v10, v11
	s_delay_alu instid0(VALU_DEP_3) | instskip(SKIP_1) | instid1(VALU_DEP_3)
	v_fma_f16 v11, v2, v12, v17
	v_fma_f16 v17, -v2, v12, v17
	v_fma_f16 v18, v8, v12, v10
	v_fma_f16 v10, v8, v12, -v10
	s_delay_alu instid0(VALU_DEP_4) | instskip(NEXT) | instid1(VALU_DEP_4)
	v_fma_f16 v11, -v13, v8, v11
	v_fmac_f16_e32 v17, v13, v8
	s_delay_alu instid0(VALU_DEP_4) | instskip(NEXT) | instid1(VALU_DEP_4)
	v_fmac_f16_e32 v18, v2, v13
	v_fmac_f16_e32 v10, v2, v13
	s_delay_alu instid0(VALU_DEP_2) | instskip(NEXT) | instid1(VALU_DEP_2)
	v_pack_b32_f16 v2, v11, v18
	v_pack_b32_f16 v8, v17, v10
	ds_store_b32 v38, v2 offset:640
	ds_store_b32 v9, v8 offset:1280
	ds_load_b32 v2, v38 offset:704
	ds_load_b32 v8, v9 offset:1216
	s_wait_dscnt 0x1
	v_lshrrev_b32_e32 v10, 16, v2
	s_wait_dscnt 0x0
	v_lshrrev_b32_e32 v11, 16, v8
	v_add_f16_e32 v13, v2, v8
	v_sub_f16_e32 v2, v2, v8
	s_wait_loadcnt 0x3
	v_lshrrev_b32_e32 v12, 16, v14
	v_add_f16_e32 v8, v11, v10
	v_sub_f16_e32 v10, v10, v11
	s_delay_alu instid0(VALU_DEP_3) | instskip(SKIP_1) | instid1(VALU_DEP_3)
	v_fma_f16 v11, v2, v12, v13
	v_fma_f16 v13, -v2, v12, v13
	v_fma_f16 v17, v8, v12, v10
	v_fma_f16 v10, v8, v12, -v10
	s_delay_alu instid0(VALU_DEP_4) | instskip(NEXT) | instid1(VALU_DEP_4)
	v_fma_f16 v11, -v14, v8, v11
	v_fmac_f16_e32 v13, v14, v8
	s_delay_alu instid0(VALU_DEP_4) | instskip(NEXT) | instid1(VALU_DEP_4)
	v_fmac_f16_e32 v17, v2, v14
	v_fmac_f16_e32 v10, v2, v14
	s_delay_alu instid0(VALU_DEP_2) | instskip(NEXT) | instid1(VALU_DEP_2)
	v_pack_b32_f16 v2, v11, v17
	v_pack_b32_f16 v8, v13, v10
	ds_store_b32 v38, v2 offset:704
	ds_store_b32 v9, v8 offset:1216
	ds_load_b32 v2, v38 offset:768
	ds_load_b32 v8, v9 offset:1152
	s_wait_dscnt 0x1
	v_lshrrev_b32_e32 v10, 16, v2
	s_wait_dscnt 0x0
	v_lshrrev_b32_e32 v11, 16, v8
	v_add_f16_e32 v13, v2, v8
	v_sub_f16_e32 v2, v2, v8
	s_wait_loadcnt 0x2
	v_lshrrev_b32_e32 v12, 16, v15
	v_add_f16_e32 v8, v11, v10
	v_sub_f16_e32 v10, v10, v11
	s_delay_alu instid0(VALU_DEP_3) | instskip(SKIP_1) | instid1(VALU_DEP_3)
	v_fma_f16 v11, v2, v12, v13
	v_fma_f16 v13, -v2, v12, v13
	v_fma_f16 v14, v8, v12, v10
	v_fma_f16 v10, v8, v12, -v10
	s_delay_alu instid0(VALU_DEP_4) | instskip(NEXT) | instid1(VALU_DEP_4)
	v_fma_f16 v11, -v15, v8, v11
	v_fmac_f16_e32 v13, v15, v8
	s_delay_alu instid0(VALU_DEP_4) | instskip(NEXT) | instid1(VALU_DEP_4)
	v_fmac_f16_e32 v14, v2, v15
	v_fmac_f16_e32 v10, v2, v15
	s_delay_alu instid0(VALU_DEP_2) | instskip(NEXT) | instid1(VALU_DEP_2)
	v_pack_b32_f16 v2, v11, v14
	v_pack_b32_f16 v8, v13, v10
	ds_store_b32 v38, v2 offset:768
	ds_store_b32 v9, v8 offset:1152
	ds_load_b32 v2, v38 offset:832
	ds_load_b32 v8, v9 offset:1088
	s_wait_dscnt 0x1
	v_lshrrev_b32_e32 v10, 16, v2
	s_wait_dscnt 0x0
	v_lshrrev_b32_e32 v11, 16, v8
	v_add_f16_e32 v13, v2, v8
	v_sub_f16_e32 v2, v2, v8
	s_wait_loadcnt 0x1
	v_lshrrev_b32_e32 v12, 16, v16
	v_add_f16_e32 v8, v11, v10
	v_sub_f16_e32 v10, v10, v11
	s_delay_alu instid0(VALU_DEP_3) | instskip(SKIP_1) | instid1(VALU_DEP_3)
	v_fma_f16 v11, v2, v12, v13
	v_fma_f16 v13, -v2, v12, v13
	v_fma_f16 v14, v8, v12, v10
	v_fma_f16 v10, v8, v12, -v10
	s_delay_alu instid0(VALU_DEP_4) | instskip(NEXT) | instid1(VALU_DEP_4)
	v_fma_f16 v11, -v16, v8, v11
	v_fmac_f16_e32 v13, v16, v8
	s_delay_alu instid0(VALU_DEP_4) | instskip(NEXT) | instid1(VALU_DEP_4)
	v_fmac_f16_e32 v14, v2, v16
	v_fmac_f16_e32 v10, v2, v16
	s_delay_alu instid0(VALU_DEP_2) | instskip(NEXT) | instid1(VALU_DEP_2)
	v_pack_b32_f16 v2, v11, v14
	v_pack_b32_f16 v8, v13, v10
	ds_store_b32 v38, v2 offset:832
	ds_store_b32 v9, v8 offset:1088
	ds_load_b32 v8, v38 offset:896
	ds_load_b32 v10, v9 offset:1024
	v_mul_u32_u24_e32 v13, 10, v1
	s_wait_loadcnt 0x0
	v_lshrrev_b32_e32 v14, 16, v7
	v_lshl_add_u32 v2, v1, 2, 0
	s_delay_alu instid0(VALU_DEP_1) | instskip(NEXT) | instid1(VALU_DEP_1)
	v_add_nc_u32_e32 v40, v2, v39
	v_add_nc_u32_e32 v36, 0x200, v40
	s_wait_dscnt 0x1
	v_lshrrev_b32_e32 v11, 16, v8
	s_wait_dscnt 0x0
	v_lshrrev_b32_e32 v12, 16, v10
	v_add_f16_e32 v15, v8, v10
	v_sub_f16_e32 v8, v8, v10
	s_delay_alu instid0(VALU_DEP_3) | instskip(SKIP_2) | instid1(VALU_DEP_4)
	v_add_f16_e32 v10, v12, v11
	v_sub_f16_e32 v11, v11, v12
	v_lshlrev_b32_e32 v12, 2, v13
	v_fma_f16 v16, v8, v14, v15
	v_fma_f16 v17, -v8, v14, v15
	s_delay_alu instid0(VALU_DEP_4)
	v_fma_f16 v18, v10, v14, v11
	v_fma_f16 v11, v10, v14, -v11
	v_add3_u32 v13, 0, v12, v39
	v_fma_f16 v12, -v7, v10, v16
	v_fmac_f16_e32 v17, v7, v10
	v_fmac_f16_e32 v18, v8, v7
	;; [unrolled: 1-line block ×3, first 2 shown]
	v_add_nc_u32_e32 v14, 0x400, v40
	v_add_nc_u32_e32 v15, 0x500, v13
	;; [unrolled: 1-line block ×3, first 2 shown]
	v_pack_b32_f16 v7, v12, v18
	v_pack_b32_f16 v8, v17, v11
	ds_store_b32 v38, v7 offset:896
	ds_store_b32 v9, v8 offset:1024
	global_wb scope:SCOPE_SE
	s_wait_dscnt 0x0
	s_barrier_signal -1
	s_barrier_wait -1
	global_inv scope:SCOPE_SE
	global_wb scope:SCOPE_SE
	s_barrier_signal -1
	s_barrier_wait -1
	global_inv scope:SCOPE_SE
	ds_load_2addr_b32 v[7:8], v40 offset0:208 offset1:224
	ds_load_2addr_b32 v[9:10], v14 offset0:48 offset1:64
	ds_load_2addr_b32 v[11:12], v40 offset0:112 offset1:128
	ds_load_2addr_b32 v[20:21], v14 offset0:144 offset1:160
	ds_load_2addr_b32 v[22:23], v40 offset0:16 offset1:32
	ds_load_2addr_b32 v[24:25], v40 offset0:80 offset1:96
	ds_load_2addr_b32 v[26:27], v40 offset0:176 offset1:192
	ds_load_2addr_b32 v[28:29], v14 offset0:16 offset1:32
	ds_load_2addr_b32 v[30:31], v14 offset0:112 offset1:128
	ds_load_b32 v47, v40 offset:1856
	ds_load_b32 v48, v38
	ds_load_2addr_b32 v[32:33], v40 offset0:48 offset1:64
	ds_load_2addr_b32 v[34:35], v40 offset0:144 offset1:160
	;; [unrolled: 1-line block ×5, first 2 shown]
	v_add_nc_u32_e32 v17, 0x510, v13
	v_add_nc_u32_e32 v18, 0x518, v13
	;; [unrolled: 1-line block ×3, first 2 shown]
	global_wb scope:SCOPE_SE
	s_wait_dscnt 0x0
	s_barrier_signal -1
	s_barrier_wait -1
	global_inv scope:SCOPE_SE
	v_lshrrev_b32_e32 v59, 16, v23
	v_lshrrev_b32_e32 v74, 16, v25
	;; [unrolled: 1-line block ×4, first 2 shown]
	v_add_f16_e32 v61, v28, v30
	v_lshrrev_b32_e32 v64, 16, v30
	v_sub_f16_e32 v65, v47, v30
	v_lshrrev_b32_e32 v51, 16, v8
	v_add_f16_e32 v36, v8, v10
	v_lshrrev_b32_e32 v49, 16, v12
	v_lshrrev_b32_e32 v50, 16, v21
	;; [unrolled: 1-line block ×3, first 2 shown]
	v_sub_f16_e32 v53, v21, v10
	v_sub_f16_e32 v54, v12, v8
	v_add_f16_e32 v55, v12, v21
	v_sub_f16_e32 v56, v10, v21
	v_sub_f16_e32 v57, v8, v12
	v_pk_add_f16 v58, v23, v12
	v_sub_f16_e32 v66, v26, v28
	v_sub_f16_e32 v68, v30, v47
	v_sub_f16_e32 v69, v28, v26
	v_pk_add_f16 v70, v24, v26
	v_lshrrev_b32_e32 v75, 16, v31
	v_lshrrev_b32_e32 v76, 16, v27
	;; [unrolled: 1-line block ×3, first 2 shown]
	v_sub_f16_e32 v78, v31, v29
	v_sub_f16_e32 v79, v25, v27
	;; [unrolled: 1-line block ×4, first 2 shown]
	v_pk_add_f16 v83, v48, v25
	v_add_f16_e32 v85, v41, v43
	v_lshrrev_b32_e32 v87, 16, v41
	v_lshrrev_b32_e32 v88, 16, v43
	v_sub_f16_e32 v89, v45, v43
	v_sub_f16_e32 v90, v34, v41
	v_add_f16_e32 v91, v34, v45
	v_sub_f16_e32 v92, v43, v45
	v_sub_f16_e32 v93, v41, v34
	v_pk_add_f16 v94, v32, v34
	v_add_f16_e32 v97, v7, v9
	v_add_f16_e32 v104, v11, v20
	v_pk_add_f16 v105, v22, v11
	v_pk_add_f16 v112, v33, v35
	v_lshrrev_b32_e32 v124, 16, v47
	v_add_f16_e32 v67, v26, v47
	v_add_f16_e32 v73, v27, v29
	v_lshrrev_b32_e32 v86, 16, v34
	v_add_f16_e32 v110, v42, v44
	v_lshrrev_b32_e32 v122, 16, v45
	v_lshrrev_b32_e32 v98, 16, v11
	;; [unrolled: 1-line block ×5, first 2 shown]
	v_sub_f16_e32 v102, v20, v9
	v_sub_f16_e32 v103, v11, v7
	;; [unrolled: 1-line block ×4, first 2 shown]
	v_lshrrev_b32_e32 v111, 16, v42
	v_lshrrev_b32_e32 v113, 16, v44
	v_sub_f16_e32 v114, v46, v44
	v_sub_f16_e32 v115, v35, v42
	;; [unrolled: 1-line block ×3, first 2 shown]
	v_add_f16_e32 v118, v35, v46
	v_sub_f16_e32 v119, v42, v35
	v_lshrrev_b32_e32 v121, 16, v35
	v_lshrrev_b32_e32 v123, 16, v46
	v_sub_f16_e32 v60, v8, v10
	v_lshrrev_b32_e32 v71, 16, v24
	v_sub_f16_e32 v72, v28, v30
	v_sub_f16_e32 v84, v27, v29
	v_lshrrev_b32_e32 v95, 16, v32
	v_sub_f16_e32 v96, v41, v43
	v_lshrrev_b32_e32 v106, 16, v22
	v_sub_f16_e32 v109, v7, v9
	v_sub_f16_e32 v117, v42, v44
	v_lshrrev_b32_e32 v125, 16, v48
	v_pk_add_f16 v27, v83, v27
	v_fma_f16 v61, -0.5, v61, v24
	v_pk_add_f16 v28, v70, v28
	v_fma_f16 v36, -0.5, v36, v23
	v_fma_f16 v23, -0.5, v55, v23
	;; [unrolled: 1-line block ×4, first 2 shown]
	v_pk_add_f16 v8, v58, v8
	v_pk_add_f16 v7, v105, v7
	v_pk_add_f16 v41, v94, v41
	v_pk_add_f16 v42, v112, v42
	v_fma_f16 v58, -0.5, v85, v32
	v_fma_f16 v32, -0.5, v91, v32
	v_add_f16_e32 v53, v54, v53
	v_add_f16_e32 v54, v57, v56
	v_sub_f16_e32 v56, v51, v52
	v_add_f16_e32 v57, v51, v52
	v_sub_f16_e32 v70, v49, v51
	v_sub_f16_e32 v51, v51, v49
	v_sub_f16_e32 v83, v49, v50
	v_add_f16_e32 v49, v49, v50
	v_sub_f16_e32 v85, v50, v52
	v_sub_f16_e32 v50, v52, v50
	v_add_f16_e32 v52, v66, v65
	v_add_f16_e32 v65, v69, v68
	v_sub_f16_e32 v66, v63, v64
	v_add_f16_e32 v68, v63, v64
	v_sub_f16_e32 v69, v62, v63
	v_sub_f16_e32 v63, v63, v62
	;; [unrolled: 1-line block ×3, first 2 shown]
	v_add_f16_e32 v62, v62, v124
	v_add_f16_e32 v78, v79, v78
	v_add_f16_e32 v79, v82, v81
	v_sub_f16_e32 v81, v76, v77
	v_add_f16_e32 v82, v76, v77
	v_sub_f16_e32 v97, v74, v76
	v_sub_f16_e32 v76, v76, v74
	;; [unrolled: 1-line block ×3, first 2 shown]
	v_add_f16_e32 v74, v74, v75
	v_sub_f16_e32 v105, v75, v77
	v_sub_f16_e32 v75, v77, v75
	v_add_f16_e32 v77, v90, v89
	v_add_f16_e32 v89, v93, v92
	v_add_f16_e32 v92, v87, v88
	v_add_f16_e32 v80, v25, v31
	v_fma_f16 v24, -0.5, v67, v24
	v_fma_f16 v67, -0.5, v110, v33
	v_sub_f16_e32 v90, v87, v88
	v_sub_f16_e32 v93, v86, v87
	v_sub_f16_e32 v87, v87, v86
	v_sub_f16_e32 v110, v86, v122
	v_add_f16_e32 v86, v86, v122
	v_fma_f16 v73, -0.5, v73, v48
	v_lshrrev_b32_e32 v120, 16, v33
	v_fma_f16 v33, -0.5, v118, v33
	v_sub_f16_e32 v94, v124, v64
	v_sub_f16_e32 v64, v64, v124
	;; [unrolled: 1-line block ×4, first 2 shown]
	v_add_f16_e32 v102, v103, v102
	v_add_f16_e32 v103, v107, v108
	v_sub_f16_e32 v107, v100, v101
	v_add_f16_e32 v108, v100, v101
	v_sub_f16_e32 v118, v98, v100
	v_sub_f16_e32 v100, v100, v98
	;; [unrolled: 1-line block ×3, first 2 shown]
	v_add_f16_e32 v98, v98, v99
	v_sub_f16_e32 v124, v99, v101
	v_sub_f16_e32 v99, v101, v99
	v_add_f16_e32 v101, v115, v114
	v_add_f16_e32 v114, v119, v116
	v_sub_f16_e32 v115, v111, v113
	v_add_f16_e32 v116, v111, v113
	v_sub_f16_e32 v119, v121, v111
	v_sub_f16_e32 v111, v111, v121
	v_sub_f16_e32 v126, v121, v123
	v_add_f16_e32 v121, v121, v123
	v_sub_f16_e32 v26, v26, v47
	v_sub_f16_e32 v34, v34, v45
	v_pk_add_f16 v8, v8, v10
	v_pk_add_f16 v7, v7, v9
	;; [unrolled: 1-line block ×5, first 2 shown]
	v_add_f16_e32 v41, v51, v50
	v_fma_f16 v43, -0.5, v68, v71
	v_fmac_f16_e32 v71, -0.5, v62
	v_fma_f16 v50, -0.5, v82, v125
	v_fma_f16 v62, -0.5, v92, v95
	v_fmamk_f16 v82, v91, 0xbb9c, v61
	v_fmac_f16_e32 v61, 0x3b9c, v91
	v_fma_f16 v48, -0.5, v80, v48
	v_fmac_f16_e32 v95, -0.5, v86
	v_fmamk_f16 v86, v104, 0xbb9c, v73
	v_fmac_f16_e32 v73, 0x3b9c, v104
	v_sub_f16_e32 v35, v35, v46
	v_pk_add_f16 v27, v27, v29
	v_add_f16_e32 v29, v70, v85
	v_add_f16_e32 v44, v63, v64
	v_fmac_f16_e32 v125, -0.5, v74
	v_add_f16_e32 v63, v87, v88
	v_fma_f16 v74, -0.5, v116, v120
	v_fmac_f16_e32 v120, -0.5, v121
	v_fmamk_f16 v85, v66, 0x3b9c, v24
	v_fmac_f16_e32 v24, 0xbb9c, v66
	v_fmamk_f16 v88, v110, 0xbb9c, v58
	v_sub_f16_e32 v12, v12, v21
	v_sub_f16_e32 v11, v11, v20
	v_fma_f16 v30, -0.5, v57, v59
	v_pk_add_f16 v7, v7, v20
	v_pk_add_f16 v10, v10, v45
	;; [unrolled: 1-line block ×3, first 2 shown]
	v_fmac_f16_e32 v82, 0xb8b4, v66
	v_fmac_f16_e32 v61, 0x38b4, v66
	v_fmamk_f16 v45, v26, 0x3b9c, v43
	v_fmamk_f16 v46, v72, 0xbb9c, v71
	v_fmac_f16_e32 v71, 0x3b9c, v72
	v_fmamk_f16 v66, v34, 0x3b9c, v62
	v_sub_f16_e32 v25, v25, v31
	v_fmac_f16_e32 v59, -0.5, v49
	v_add_f16_e32 v49, v97, v105
	v_add_f16_e32 v51, v76, v75
	v_fmamk_f16 v75, v83, 0xbb9c, v36
	v_fmac_f16_e32 v36, 0x3b9c, v83
	v_fmamk_f16 v87, v81, 0x3b9c, v48
	v_fmac_f16_e32 v48, 0xbb9c, v81
	;; [unrolled: 2-line block ×3, first 2 shown]
	v_fmac_f16_e32 v73, 0x38b4, v81
	v_fmac_f16_e32 v43, 0xbb9c, v26
	v_fmamk_f16 v81, v96, 0xbb9c, v95
	v_fmac_f16_e32 v95, 0x3b9c, v96
	v_fmac_f16_e32 v62, 0xbb9c, v34
	v_sub_f16_e32 v127, v123, v113
	v_sub_f16_e32 v113, v113, v123
	v_add_f16_e32 v42, v69, v94
	v_fma_f16 v68, -0.5, v108, v106
	v_fmac_f16_e32 v106, -0.5, v98
	v_add_f16_e32 v69, v100, v99
	v_fmamk_f16 v80, v56, 0x3b9c, v23
	v_fmac_f16_e32 v23, 0xbb9c, v56
	v_fmac_f16_e32 v58, 0x3b9c, v110
	v_fmac_f16_e32 v85, 0xb8b4, v91
	v_fmac_f16_e32 v24, 0x38b4, v91
	v_fmac_f16_e32 v88, 0xb8b4, v90
	v_fmamk_f16 v91, v35, 0x3b9c, v74
	v_fmac_f16_e32 v74, 0xbb9c, v35
	v_fmamk_f16 v99, v117, 0xbb9c, v120
	v_fmac_f16_e32 v120, 0x3b9c, v117
	v_add_f16_e32 v57, v93, v112
	v_fmamk_f16 v28, v12, 0x3b9c, v30
	v_fmac_f16_e32 v30, 0xbb9c, v12
	v_fmac_f16_e32 v45, 0x38b4, v72
	;; [unrolled: 1-line block ×5, first 2 shown]
	v_fmamk_f16 v92, v90, 0x3b9c, v32
	v_fmac_f16_e32 v32, 0xbb9c, v90
	v_pk_add_f16 v27, v27, v31
	v_fmac_f16_e32 v75, 0xb8b4, v56
	v_fmac_f16_e32 v36, 0x38b4, v56
	v_pk_add_f16 v9, v9, v47
	v_fmac_f16_e32 v97, 0xb8b4, v115
	v_fmamk_f16 v47, v25, 0x3b9c, v50
	v_fmac_f16_e32 v50, 0xbb9c, v25
	v_fmamk_f16 v56, v84, 0xbb9c, v125
	v_fmac_f16_e32 v125, 0x3b9c, v84
	v_fmac_f16_e32 v82, 0x34f2, v52
	;; [unrolled: 1-line block ×6, first 2 shown]
	v_add_f16_e32 v70, v119, v127
	v_add_f16_e32 v76, v111, v113
	v_fmac_f16_e32 v67, 0x3b9c, v126
	v_fmamk_f16 v98, v115, 0x3b9c, v33
	v_fmac_f16_e32 v33, 0xbb9c, v115
	v_pk_add_f16 v21, v8, v21
	v_fmac_f16_e32 v80, 0xb8b4, v83
	v_fmac_f16_e32 v23, 0x38b4, v83
	;; [unrolled: 1-line block ×3, first 2 shown]
	v_fmamk_f16 v83, v11, 0x3b9c, v68
	v_fmac_f16_e32 v68, 0xbb9c, v11
	v_fmamk_f16 v90, v109, 0xbb9c, v106
	v_fmac_f16_e32 v106, 0x3b9c, v109
	v_fmac_f16_e32 v88, 0x34f2, v77
	;; [unrolled: 1-line block ×6, first 2 shown]
	v_fmamk_f16 v31, v60, 0xbb9c, v59
	v_fmac_f16_e32 v59, 0x3b9c, v60
	v_fmac_f16_e32 v28, 0x38b4, v60
	;; [unrolled: 1-line block ×13, first 2 shown]
	v_pk_add_f16 v25, v27, v10
	v_pk_add_f16 v26, v27, v10 neg_lo:[0,1] neg_hi:[0,1]
	v_fmac_f16_e32 v97, 0x34f2, v101
	v_pk_add_f16 v27, v7, v20
	v_pk_add_f16 v20, v7, v20 neg_lo:[0,1] neg_hi:[0,1]
	v_fmac_f16_e32 v43, 0x34f2, v42
	v_mul_f16_e32 v7, 0x38b4, v82
	v_fmac_f16_e32 v81, 0x34f2, v63
	v_fmac_f16_e32 v95, 0x34f2, v63
	;; [unrolled: 1-line block ×3, first 2 shown]
	v_add_f16_e32 v64, v118, v124
	v_fmamk_f16 v93, v122, 0xbb9c, v55
	v_fmac_f16_e32 v55, 0x3b9c, v122
	v_fmamk_f16 v94, v107, 0x3b9c, v22
	v_fmac_f16_e32 v22, 0xbb9c, v107
	v_fmac_f16_e32 v67, 0x38b4, v115
	;; [unrolled: 1-line block ×4, first 2 shown]
	v_pk_add_f16 v8, v21, v9 neg_lo:[0,1] neg_hi:[0,1]
	v_fmac_f16_e32 v83, 0x38b4, v109
	v_fmac_f16_e32 v68, 0xb8b4, v109
	;; [unrolled: 1-line block ×4, first 2 shown]
	v_pk_add_f16 v21, v21, v9
	v_mul_f16_e32 v9, 0x38b4, v88
	v_fmac_f16_e32 v91, 0x34f2, v70
	v_fmac_f16_e32 v74, 0x34f2, v70
	;; [unrolled: 1-line block ×9, first 2 shown]
	v_mul_f16_e32 v11, 0xb8b4, v45
	v_mul_f16_e32 v12, 0xbb9c, v46
	;; [unrolled: 1-line block ×5, first 2 shown]
	v_fmac_f16_e32 v87, 0xb8b4, v104
	v_fmac_f16_e32 v48, 0x38b4, v104
	;; [unrolled: 1-line block ×14, first 2 shown]
	v_mul_f16_e32 v10, 0x38b4, v97
	v_mul_f16_e32 v34, 0xb8b4, v43
	v_fmac_f16_e32 v7, 0x3a79, v45
	v_mul_f16_e32 v45, 0xba79, v43
	v_mul_f16_e32 v49, 0xbb9c, v81
	;; [unrolled: 1-line block ×5, first 2 shown]
	v_fmac_f16_e32 v58, 0x34f2, v77
	v_mul_f16_e32 v52, 0xb8b4, v62
	v_mul_f16_e32 v57, 0xba79, v62
	v_fmac_f16_e32 v93, 0xb8b4, v107
	v_fmac_f16_e32 v55, 0x38b4, v107
	;; [unrolled: 1-line block ×11, first 2 shown]
	v_mul_f16_e32 v44, 0xb4f2, v71
	v_fmac_f16_e32 v9, 0x3a79, v66
	v_mul_f16_e32 v60, 0xb8b4, v91
	v_mul_f16_e32 v62, 0xbb9c, v99
	;; [unrolled: 1-line block ×7, first 2 shown]
	v_fmac_f16_e32 v86, 0x34f2, v78
	v_fmac_f16_e32 v11, 0x3a79, v82
	;; [unrolled: 1-line block ×32, first 2 shown]
	v_add_f16_e32 v70, v28, v7
	v_sub_f16_e32 v42, v28, v7
	v_add_f16_e32 v24, v47, v9
	v_sub_f16_e32 v28, v47, v9
	v_add_f16_e32 v47, v75, v11
	v_add_f16_e32 v61, v23, v29
	v_sub_f16_e32 v9, v75, v11
	v_sub_f16_e32 v11, v23, v29
	v_add_f16_e32 v23, v86, v46
	v_add_f16_e32 v32, v83, v10
	v_sub_f16_e32 v33, v83, v10
	v_add_f16_e32 v58, v80, v12
	v_add_f16_e32 v7, v36, v34
	;; [unrolled: 1-line block ×4, first 2 shown]
	v_sub_f16_e32 v10, v80, v12
	v_sub_f16_e32 v12, v36, v34
	;; [unrolled: 1-line block ×4, first 2 shown]
	v_add_f16_e32 v29, v87, v49
	v_add_f16_e32 v30, v48, v51
	;; [unrolled: 1-line block ×6, first 2 shown]
	v_sub_f16_e32 v46, v86, v46
	v_sub_f16_e32 v49, v87, v49
	;; [unrolled: 1-line block ×5, first 2 shown]
	v_add_f16_e32 v71, v59, v44
	v_sub_f16_e32 v44, v59, v44
	v_sub_f16_e32 v53, v125, v54
	;; [unrolled: 1-line block ×3, first 2 shown]
	v_add_f16_e32 v54, v93, v60
	v_add_f16_e32 v56, v94, v62
	;; [unrolled: 1-line block ×7, first 2 shown]
	v_sub_f16_e32 v60, v93, v60
	v_sub_f16_e32 v62, v94, v62
	;; [unrolled: 1-line block ×7, first 2 shown]
	v_pack_b32_f16 v23, v23, v24
	v_pack_b32_f16 v24, v30, v35
	;; [unrolled: 1-line block ×24, first 2 shown]
	ds_store_2addr_b32 v13, v25, v23 offset1:1
	ds_store_2addr_b32 v13, v29, v24 offset0:2 offset1:3
	ds_store_2addr_b32 v13, v30, v26 offset0:4 offset1:5
	;; [unrolled: 1-line block ×9, first 2 shown]
	ds_store_2addr_b32 v15, v21, v47 offset1:1
	ds_store_2addr_b32 v16, v52, v51 offset1:1
	;; [unrolled: 1-line block ×5, first 2 shown]
	global_wb scope:SCOPE_SE
	s_wait_dscnt 0x0
	s_barrier_signal -1
	s_barrier_wait -1
	global_inv scope:SCOPE_SE
	ds_load_2addr_b32 v[35:36], v40 offset0:60 offset1:76
	ds_load_2addr_b32 v[21:22], v40 offset0:92 offset1:120
	;; [unrolled: 1-line block ×9, first 2 shown]
	ds_load_2addr_b32 v[25:26], v14 offset1:16
	ds_load_2addr_b32 v[23:24], v14 offset0:120 offset1:136
	ds_load_b32 v49, v38
	ds_load_u16 v50, v40 offset:1682
	ds_load_b32 v48, v40 offset:1808
                                        ; implicit-def: $vgpr47
                                        ; implicit-def: $vgpr13
                                        ; implicit-def: $vgpr46
	s_and_saveexec_b32 s1, s0
	s_cbranch_execz .LBB0_21
; %bb.20:
	ds_load_2addr_b32 v[7:8], v40 offset0:48 offset1:108
	ds_load_2addr_b32 v[9:10], v40 offset0:168 offset1:228
	;; [unrolled: 1-line block ×4, first 2 shown]
	s_wait_dscnt 0x3
	v_lshrrev_b32_e32 v41, 16, v7
	s_wait_dscnt 0x2
	v_lshrrev_b32_e32 v42, 16, v9
	v_lshrrev_b32_e32 v43, 16, v10
	s_wait_dscnt 0x1
	v_lshrrev_b32_e32 v44, 16, v11
	;; [unrolled: 3-line block ×3, first 2 shown]
	v_lshrrev_b32_e32 v46, 16, v14
.LBB0_21:
	s_wait_alu 0xfffe
	s_or_b32 exec_lo, exec_lo, s1
	v_dual_mov_b32 v52, 0 :: v_dual_add_nc_u32 v51, -10, v1
	v_cmp_gt_u32_e64 s1, 10, v1
	v_or_b32_e32 v57, 16, v1
	s_wait_dscnt 0xd
	v_lshrrev_b32_e32 v93, 16, v35
	s_wait_dscnt 0xc
	v_lshrrev_b32_e32 v95, 16, v22
	;; [unrolled: 2-line block ×3, first 2 shown]
	s_wait_alu 0xf1ff
	v_cndmask_b32_e64 v72, v51, v1, s1
	v_and_b32_e32 v58, 0xff, v57
	s_wait_dscnt 0x2
	v_lshrrev_b32_e32 v77, 16, v49
	v_lshrrev_b32_e32 v79, 16, v27
	;; [unrolled: 1-line block ×3, first 2 shown]
	v_mul_i32_i24_e32 v51, 7, v72
	v_lshrrev_b32_e32 v81, 16, v25
	v_lshrrev_b32_e32 v82, 16, v32
	;; [unrolled: 1-line block ×4, first 2 shown]
	v_lshlrev_b64_e32 v[51:52], 2, v[51:52]
	v_lshrrev_b32_e32 v97, 16, v36
	v_lshrrev_b32_e32 v86, 16, v21
	;; [unrolled: 1-line block ×5, first 2 shown]
	v_add_co_u32 v55, s1, s8, v51
	s_wait_alu 0xf1ff
	v_add_co_ci_u32_e64 v56, s1, s9, v52, s1
	v_cmp_lt_u32_e64 s1, 9, v1
	v_lshrrev_b32_e32 v90, 16, v17
	v_lshrrev_b32_e32 v91, 16, v24
	s_clause 0x1
	global_load_b128 v[51:54], v[55:56], off
	global_load_b96 v[63:65], v[55:56], off offset:16
	v_or_b32_e32 v55, 32, v1
	v_mul_lo_u16 v56, 0xcd, v58
	s_wait_alu 0xf1ff
	v_cndmask_b32_e64 v94, 0, 0x50, s1
	s_wait_dscnt 0x0
	v_lshrrev_b32_e32 v92, 16, v48
	v_lshrrev_b32_e32 v78, 16, v15
	v_and_b32_e32 v58, 0xff, v55
	v_lshrrev_b16 v73, 11, v56
	v_or_b32_e32 v72, v94, v72
	v_lshrrev_b32_e32 v94, 16, v31
	v_lshrrev_b32_e32 v85, 16, v16
	v_mul_lo_u16 v56, 0xcd, v58
	v_mul_lo_u16 v58, v73, 10
	;; [unrolled: 1-line block ×3, first 2 shown]
	v_lshlrev_b32_e32 v72, 2, v72
	s_delay_alu instid0(VALU_DEP_4) | instskip(NEXT) | instid1(VALU_DEP_4)
	v_lshrrev_b16 v74, 11, v56
	v_sub_nc_u16 v75, v57, v58
	s_delay_alu instid0(VALU_DEP_3) | instskip(NEXT) | instid1(VALU_DEP_3)
	v_add3_u32 v72, 0, v72, v39
	v_mul_lo_u16 v56, v74, 10
	s_delay_alu instid0(VALU_DEP_3)
	v_mul_lo_u16 v57, v75, 7
	v_and_b32_e32 v74, 0xffff, v74
	v_or_b32_e32 v73, v73, v75
	v_lshrrev_b32_e32 v75, 16, v20
	v_sub_nc_u16 v55, v55, v56
	v_and_b32_e32 v56, 0xff, v57
	v_mul_u32_u24_e32 v74, 0x50, v74
	v_and_b32_e32 v73, 0xff, v73
	s_delay_alu instid0(VALU_DEP_4) | instskip(NEXT) | instid1(VALU_DEP_4)
	v_and_b32_e32 v76, 0xff, v55
	v_lshlrev_b32_e32 v59, 2, v56
	s_delay_alu instid0(VALU_DEP_3) | instskip(NEXT) | instid1(VALU_DEP_3)
	v_lshlrev_b32_e32 v73, 2, v73
	v_mul_u32_u24_e32 v60, 7, v76
	global_load_b128 v[55:58], v59, s[8:9]
	v_or_b32_e32 v74, v74, v76
	v_lshrrev_b32_e32 v76, 16, v18
	v_add3_u32 v73, 0, v73, v39
	v_lshlrev_b32_e32 v69, 2, v60
	s_clause 0x2
	global_load_b96 v[66:68], v59, s[8:9] offset:16
	global_load_b128 v[59:62], v69, s[8:9]
	global_load_b96 v[69:71], v69, s[8:9] offset:16
	global_wb scope:SCOPE_SE
	s_wait_loadcnt 0x0
	s_barrier_signal -1
	s_barrier_wait -1
	global_inv scope:SCOPE_SE
	v_lshlrev_b32_e32 v74, 2, v74
	s_delay_alu instid0(VALU_DEP_1)
	v_add3_u32 v74, 0, v74, v39
	v_lshrrev_b32_e32 v98, 16, v51
	v_lshrrev_b32_e32 v99, 16, v52
	;; [unrolled: 1-line block ×7, first 2 shown]
	v_mul_f16_e32 v105, v98, v93
	v_mul_f16_e32 v98, v98, v35
	v_mul_f16_e32 v106, v99, v95
	v_mul_f16_e32 v99, v99, v22
	v_mul_f16_e32 v107, v100, v96
	v_mul_f16_e32 v100, v100, v33
	v_mul_f16_e32 v108, v101, v75
	v_mul_f16_e32 v101, v101, v20
	v_mul_f16_e32 v109, v102, v94
	v_mul_f16_e32 v102, v102, v31
	v_mul_f16_e32 v110, v103, v76
	v_mul_f16_e32 v103, v103, v18
	v_mul_f16_e32 v111, v50, v104
	v_mul_f16_e32 v104, v104, v29
	v_fmac_f16_e32 v105, v51, v35
	v_fma_f16 v35, v51, v93, -v98
	v_fmac_f16_e32 v106, v52, v22
	v_fma_f16 v22, v52, v95, -v99
	;; [unrolled: 2-line block ×7, first 2 shown]
	v_sub_f16_e32 v50, v49, v108
	v_sub_f16_e32 v20, v77, v20
	;; [unrolled: 1-line block ×8, first 2 shown]
	v_lshrrev_b32_e32 v54, 16, v55
	v_lshrrev_b32_e32 v63, 16, v56
	;; [unrolled: 1-line block ×14, first 2 shown]
	v_fma_f16 v49, v49, 2.0, -v50
	v_fma_f16 v77, v77, 2.0, -v20
	;; [unrolled: 1-line block ×8, first 2 shown]
	v_add_f16_e32 v18, v50, v18
	v_sub_f16_e32 v51, v20, v51
	v_add_f16_e32 v29, v52, v29
	v_sub_f16_e32 v53, v31, v53
	v_mul_f16_e32 v105, v54, v97
	v_mul_f16_e32 v54, v54, v36
	;; [unrolled: 1-line block ×28, first 2 shown]
	v_sub_f16_e32 v102, v49, v102
	v_sub_f16_e32 v22, v77, v22
	v_fma_f16 v50, v50, 2.0, -v18
	v_fma_f16 v20, v20, 2.0, -v51
	v_sub_f16_e32 v104, v103, v104
	v_sub_f16_e32 v33, v35, v33
	v_fma_f16 v52, v52, 2.0, -v29
	v_fma_f16 v31, v31, 2.0, -v53
	v_fmamk_f16 v119, v29, 0x39a8, v18
	v_fmamk_f16 v120, v53, 0x39a8, v51
	v_fmac_f16_e32 v105, v55, v36
	v_fma_f16 v36, v55, v97, -v54
	v_fmac_f16_e32 v106, v27, v56
	v_fma_f16 v27, v79, v56, -v63
	;; [unrolled: 2-line block ×14, first 2 shown]
	v_fma_f16 v49, v49, 2.0, -v102
	v_fma_f16 v54, v77, 2.0, -v22
	;; [unrolled: 1-line block ×4, first 2 shown]
	v_fmamk_f16 v56, v52, 0xb9a8, v50
	v_fmamk_f16 v57, v31, 0xb9a8, v20
	v_add_f16_e32 v33, v102, v33
	v_sub_f16_e32 v58, v22, v104
	v_fmac_f16_e32 v119, 0x39a8, v53
	v_fmac_f16_e32 v120, 0xb9a8, v29
	v_sub_f16_e32 v29, v15, v108
	v_sub_f16_e32 v25, v78, v25
	;; [unrolled: 1-line block ×18, first 2 shown]
	v_fmac_f16_e32 v56, 0x39a8, v31
	v_fmac_f16_e32 v57, 0xb9a8, v52
	v_fma_f16 v31, v102, 2.0, -v33
	v_fma_f16 v22, v22, 2.0, -v58
	;; [unrolled: 1-line block ×4, first 2 shown]
	v_pack_b32_f16 v33, v33, v58
	v_pack_b32_f16 v52, v119, v120
	v_fma_f16 v15, v15, 2.0, -v29
	v_fma_f16 v58, v78, 2.0, -v25
	;; [unrolled: 1-line block ×8, first 2 shown]
	v_add_f16_e32 v23, v29, v23
	v_sub_f16_e32 v53, v25, v53
	v_add_f16_e32 v30, v59, v30
	v_sub_f16_e32 v60, v32, v60
	v_fma_f16 v16, v16, 2.0, -v61
	v_fma_f16 v68, v85, 2.0, -v26
	;; [unrolled: 1-line block ×8, first 2 shown]
	v_add_f16_e32 v24, v61, v24
	v_sub_f16_e32 v62, v26, v62
	v_add_f16_e32 v48, v63, v48
	v_sub_f16_e32 v64, v17, v64
	v_fma_f16 v49, v49, 2.0, -v55
	v_fma_f16 v54, v54, 2.0, -v35
	;; [unrolled: 1-line block ×4, first 2 shown]
	v_pack_b32_f16 v22, v31, v22
	v_pack_b32_f16 v18, v18, v51
	ds_store_2addr_b32 v72, v33, v52 offset0:60 offset1:70
	v_sub_f16_e32 v33, v15, v65
	v_sub_f16_e32 v27, v58, v27
	v_fma_f16 v29, v29, 2.0, -v23
	v_fma_f16 v25, v25, 2.0, -v53
	v_sub_f16_e32 v51, v66, v67
	v_sub_f16_e32 v34, v36, v34
	v_fma_f16 v52, v59, 2.0, -v30
	v_fma_f16 v32, v32, 2.0, -v60
	v_pack_b32_f16 v31, v55, v35
	v_pack_b32_f16 v35, v56, v57
	v_fmamk_f16 v56, v60, 0x39a8, v53
	v_sub_f16_e32 v57, v16, v69
	v_sub_f16_e32 v28, v68, v28
	v_fma_f16 v59, v61, 2.0, -v24
	v_fma_f16 v26, v26, 2.0, -v62
	v_sub_f16_e32 v61, v70, v71
	v_sub_f16_e32 v19, v21, v19
	v_fma_f16 v63, v63, 2.0, -v48
	v_fma_f16 v17, v17, 2.0, -v64
	v_fmamk_f16 v55, v30, 0x39a8, v23
	v_pack_b32_f16 v49, v49, v54
	v_pack_b32_f16 v20, v50, v20
	ds_store_2addr_b32 v72, v22, v18 offset0:20 offset1:30
	ds_store_2addr_b32 v72, v31, v35 offset0:40 offset1:50
	v_fma_f16 v15, v15, 2.0, -v33
	v_fma_f16 v18, v58, 2.0, -v27
	;; [unrolled: 1-line block ×4, first 2 shown]
	v_fmamk_f16 v35, v52, 0xb9a8, v29
	v_fmamk_f16 v36, v32, 0xb9a8, v25
	v_add_f16_e32 v34, v33, v34
	v_sub_f16_e32 v50, v27, v51
	v_fmac_f16_e32 v56, 0xb9a8, v30
	v_fma_f16 v16, v16, 2.0, -v57
	v_fma_f16 v30, v68, 2.0, -v28
	;; [unrolled: 1-line block ×4, first 2 shown]
	v_fmamk_f16 v54, v63, 0xb9a8, v59
	v_fmamk_f16 v58, v17, 0xb9a8, v26
	;; [unrolled: 1-line block ×4, first 2 shown]
	v_fmac_f16_e32 v55, 0x39a8, v60
	ds_store_2addr_b32 v72, v49, v20 offset1:10
	v_sub_f16_e32 v20, v15, v22
	v_sub_f16_e32 v22, v18, v31
	v_fmac_f16_e32 v35, 0x39a8, v32
	v_fmac_f16_e32 v36, 0xb9a8, v52
	v_fma_f16 v31, v33, 2.0, -v34
	v_sub_f16_e32 v33, v16, v51
	v_sub_f16_e32 v21, v30, v21
	v_fmac_f16_e32 v54, 0x39a8, v17
	v_fmac_f16_e32 v58, 0xb9a8, v63
	v_add_f16_e32 v19, v57, v19
	v_sub_f16_e32 v60, v28, v61
	v_fmac_f16_e32 v65, 0x39a8, v64
	v_fmac_f16_e32 v67, 0xb9a8, v48
	v_fma_f16 v27, v27, 2.0, -v50
	v_fma_f16 v23, v23, 2.0, -v55
	;; [unrolled: 1-line block ×15, first 2 shown]
	v_pack_b32_f16 v34, v34, v50
	v_pack_b32_f16 v49, v55, v56
	;; [unrolled: 1-line block ×14, first 2 shown]
	ds_store_2addr_b32 v73, v34, v49 offset0:60 offset1:70
	v_pack_b32_f16 v21, v33, v21
	v_pack_b32_f16 v26, v54, v58
	ds_store_2addr_b32 v73, v27, v23 offset0:20 offset1:30
	ds_store_2addr_b32 v73, v20, v22 offset0:40 offset1:50
	ds_store_2addr_b32 v73, v15, v18 offset1:10
	ds_store_2addr_b32 v74, v16, v25 offset1:10
	ds_store_2addr_b32 v74, v17, v24 offset0:20 offset1:30
	ds_store_2addr_b32 v74, v21, v26 offset0:40 offset1:50
	;; [unrolled: 1-line block ×3, first 2 shown]
	s_and_saveexec_b32 s1, s0
	s_cbranch_execz .LBB0_23
; %bb.22:
	v_or_b32_e32 v15, 48, v1
	s_delay_alu instid0(VALU_DEP_1) | instskip(NEXT) | instid1(VALU_DEP_1)
	v_and_b32_e32 v16, 0xff, v15
	v_mul_lo_u16 v16, 0xcd, v16
	s_delay_alu instid0(VALU_DEP_1) | instskip(NEXT) | instid1(VALU_DEP_1)
	v_lshrrev_b16 v22, 11, v16
	v_mul_lo_u16 v16, v22, 10
	v_and_b32_e32 v22, 0xffff, v22
	s_delay_alu instid0(VALU_DEP_2) | instskip(NEXT) | instid1(VALU_DEP_2)
	v_sub_nc_u16 v15, v15, v16
	v_mul_u32_u24_e32 v22, 0x50, v22
	s_delay_alu instid0(VALU_DEP_2) | instskip(NEXT) | instid1(VALU_DEP_1)
	v_and_b32_e32 v23, 0xff, v15
	v_mul_u32_u24_e32 v15, 7, v23
	s_delay_alu instid0(VALU_DEP_3) | instskip(SKIP_1) | instid1(VALU_DEP_3)
	v_or_b32_e32 v22, v22, v23
	v_lshrrev_b32_e32 v23, 16, v8
	v_lshlrev_b32_e32 v19, 2, v15
	s_delay_alu instid0(VALU_DEP_3)
	v_lshlrev_b32_e32 v22, 2, v22
	s_clause 0x1
	global_load_b128 v[15:18], v19, s[8:9]
	global_load_b96 v[19:21], v19, s[8:9] offset:16
	s_wait_loadcnt 0x1
	v_lshrrev_b32_e32 v24, 16, v15
	v_lshrrev_b32_e32 v25, 16, v16
	;; [unrolled: 1-line block ×4, first 2 shown]
	s_wait_loadcnt 0x0
	v_lshrrev_b32_e32 v28, 16, v20
	v_lshrrev_b32_e32 v29, 16, v19
	;; [unrolled: 1-line block ×3, first 2 shown]
	v_mul_f16_e32 v31, v44, v26
	v_mul_f16_e32 v32, v9, v25
	;; [unrolled: 1-line block ×14, first 2 shown]
	v_fmac_f16_e32 v31, v11, v18
	v_fma_f16 v11, v42, v16, -v32
	v_fma_f16 v32, v47, v20, -v33
	;; [unrolled: 1-line block ×4, first 2 shown]
	v_fmac_f16_e32 v36, v10, v17
	v_fmac_f16_e32 v48, v14, v21
	;; [unrolled: 1-line block ×4, first 2 shown]
	v_fma_f16 v8, v43, v17, -v27
	v_fma_f16 v10, v46, v21, -v30
	;; [unrolled: 1-line block ×3, first 2 shown]
	v_fmac_f16_e32 v25, v9, v16
	v_fmac_f16_e32 v28, v13, v20
	v_sub_f16_e32 v9, v7, v31
	v_sub_f16_e32 v13, v11, v32
	;; [unrolled: 1-line block ×8, first 2 shown]
	v_add3_u32 v18, 0, v22, v39
	v_add_f16_e32 v19, v9, v13
	v_sub_f16_e32 v20, v14, v15
	v_add_f16_e32 v21, v16, v10
	v_sub_f16_e32 v22, v12, v17
	v_fma_f16 v7, v7, 2.0, -v9
	v_fma_f16 v17, v25, 2.0, -v17
	v_fma_f16 v23, v23, 2.0, -v14
	v_fma_f16 v8, v8, 2.0, -v10
	v_fma_f16 v10, v41, 2.0, -v12
	v_fma_f16 v11, v11, 2.0, -v13
	v_fma_f16 v13, v24, 2.0, -v16
	v_fma_f16 v15, v36, 2.0, -v15
	v_fmamk_f16 v24, v21, 0x39a8, v19
	v_sub_f16_e32 v17, v7, v17
	v_sub_f16_e32 v8, v23, v8
	;; [unrolled: 1-line block ×4, first 2 shown]
	v_fma_f16 v9, v9, 2.0, -v19
	v_fma_f16 v14, v14, 2.0, -v20
	;; [unrolled: 1-line block ×4, first 2 shown]
	v_fmamk_f16 v25, v20, 0x39a8, v22
	v_fmac_f16_e32 v24, 0x39a8, v20
	v_add_f16_e32 v20, v17, v8
	v_fmamk_f16 v26, v16, 0xb9a8, v9
	v_fmamk_f16 v27, v14, 0xb9a8, v12
	v_fma_f16 v7, v7, 2.0, -v17
	v_fma_f16 v13, v13, 2.0, -v15
	;; [unrolled: 1-line block ×4, first 2 shown]
	v_fmac_f16_e32 v25, 0xb9a8, v21
	v_sub_f16_e32 v21, v11, v15
	v_fmac_f16_e32 v26, 0x39a8, v14
	v_fmac_f16_e32 v27, 0xb9a8, v16
	v_sub_f16_e32 v13, v7, v13
	v_sub_f16_e32 v8, v10, v8
	v_fma_f16 v15, v19, 2.0, -v24
	v_fma_f16 v19, v22, 2.0, -v25
	;; [unrolled: 1-line block ×8, first 2 shown]
	v_pack_b32_f16 v11, v14, v11
	v_pack_b32_f16 v14, v15, v19
	;; [unrolled: 1-line block ×8, first 2 shown]
	ds_store_2addr_b32 v18, v11, v14 offset0:20 offset1:30
	ds_store_2addr_b32 v18, v8, v13 offset0:40 offset1:50
	ds_store_2addr_b32 v18, v7, v9 offset1:10
	ds_store_2addr_b32 v18, v16, v10 offset0:60 offset1:70
.LBB0_23:
	s_wait_alu 0xfffe
	s_or_b32 exec_lo, exec_lo, s1
	v_mul_u32_u24_e32 v7, 5, v1
	global_wb scope:SCOPE_SE
	s_wait_dscnt 0x0
	s_barrier_signal -1
	s_barrier_wait -1
	global_inv scope:SCOPE_SE
	v_lshlrev_b32_e32 v7, 2, v7
	v_add_nc_u32_e32 v12, 0x200, v40
	v_add_nc_u32_e32 v11, 0x400, v40
	v_lshl_add_u32 v2, v37, 2, v2
	s_clause 0x7
	global_load_b128 v[14:17], v7, s[8:9] offset:280
	global_load_b32 v59, v7, s[8:9] offset:296
	global_load_b128 v[18:21], v7, s[8:9] offset:600
	global_load_b32 v60, v7, s[8:9] offset:616
	;; [unrolled: 2-line block ×4, first 2 shown]
	v_add_nc_u32_e32 v7, 0x500, v7
	s_clause 0x1
	global_load_b128 v[30:33], v7, s[8:9] offset:280
	global_load_b32 v63, v7, s[8:9] offset:296
	ds_load_b32 v64, v38
	ds_load_2addr_b32 v[34:35], v40 offset0:80 offset1:96
	ds_load_2addr_b32 v[38:39], v40 offset0:144 offset1:160
	;; [unrolled: 1-line block ×7, first 2 shown]
	ds_load_b32 v65, v40 offset:1856
	ds_load_2addr_b32 v[36:37], v12 offset0:112 offset1:128
	ds_load_2addr_b32 v[47:48], v11 offset0:48 offset1:64
	;; [unrolled: 1-line block ×7, first 2 shown]
	global_wb scope:SCOPE_SE
	s_wait_loadcnt_dscnt 0x0
	s_barrier_signal -1
	s_barrier_wait -1
	global_inv scope:SCOPE_SE
	v_lshrrev_b32_e32 v79, 16, v65
	v_lshrrev_b32_e32 v67, 16, v34
	;; [unrolled: 1-line block ×49, first 2 shown]
	v_mul_f16_e32 v114, v67, v94
	v_mul_f16_e32 v94, v34, v94
	v_mul_f16_e32 v115, v68, v95
	v_mul_f16_e32 v116, v80, v96
	v_mul_f16_e32 v96, v36, v96
	v_mul_f16_e32 v117, v81, v97
	v_mul_f16_e32 v118, v82, v98
	v_mul_f16_e32 v98, v49, v98
	v_mul_f16_e32 v119, v70, v99
	v_mul_f16_e32 v99, v35, v99
	v_mul_f16_e32 v120, v71, v100
	v_mul_f16_e32 v121, v83, v101
	v_mul_f16_e32 v101, v37, v101
	v_mul_f16_e32 v122, v84, v102
	v_mul_f16_e32 v123, v85, v103
	v_mul_f16_e32 v103, v50, v103
	v_mul_f16_e32 v124, v73, v104
	v_mul_f16_e32 v104, v43, v104
	v_mul_f16_e32 v125, v74, v105
	v_mul_f16_e32 v126, v86, v106
	v_mul_f16_e32 v106, v53, v106
	v_mul_f16_e64 v128, v88, v108
	v_mul_f16_e32 v108, v55, v108
	v_lshrrev_b32_e32 v134, 16, v30
	v_lshrrev_b32_e32 v135, 16, v31
	;; [unrolled: 1-line block ×4, first 2 shown]
	v_mul_f16_e32 v95, v39, v95
	v_mul_f16_e32 v97, v48, v97
	;; [unrolled: 1-line block ×6, first 2 shown]
	v_mul_f16_e64 v129, v75, v109
	v_mul_f16_e32 v109, v44, v109
	v_mul_f16_e64 v130, v76, v110
	v_mul_f16_e32 v110, v45, v110
	;; [unrolled: 2-line block ×4, first 2 shown]
	v_lshrrev_b32_e32 v136, 16, v32
	v_lshrrev_b32_e32 v137, 16, v33
	v_fmac_f16_e32 v114, v34, v14
	v_fma_f16 v14, v67, v14, -v94
	v_fmac_f16_e32 v115, v39, v15
	v_fmac_f16_e32 v116, v36, v16
	v_fma_f16 v16, v80, v16, -v96
	v_fmac_f16_e32 v117, v48, v17
	;; [unrolled: 3-line block ×3, first 2 shown]
	v_fma_f16 v18, v70, v18, -v99
	v_fmac_f16_e32 v120, v41, v19
	v_fmac_f16_e32 v121, v37, v20
	v_fma_f16 v20, v83, v20, -v101
	v_fmac_f16_e32 v122, v51, v21
	v_fmac_f16_e32 v123, v50, v60
	v_fma_f16 v35, v85, v60, -v103
	v_fmac_f16_e32 v124, v43, v22
	v_fma_f16 v22, v73, v22, -v104
	v_fmac_f16_e32 v125, v42, v23
	v_fmac_f16_e32 v126, v53, v24
	v_fma_f16 v24, v86, v24, -v106
	v_fma_f16 v36, v88, v61, -v108
	v_mul_f16_e64 v39, v77, v134
	v_mul_f16_e64 v41, v38, v134
	;; [unrolled: 1-line block ×6, first 2 shown]
	v_mul_f16_e32 v107, v52, v107
	v_mul_f16_e64 v132, v90, v112
	v_fma_f16 v15, v68, v15, -v95
	v_fma_f16 v17, v81, v17, -v97
	;; [unrolled: 1-line block ×4, first 2 shown]
	v_fmac_f16_e32 v127, v52, v25
	v_fmac_f16_e64 v128, v55, v61
	v_fmac_f16_e64 v129, v44, v26
	v_fma_f16 v26, v75, v26, -v109
	v_fmac_f16_e64 v130, v45, v27
	v_fma_f16 v27, v76, v27, -v110
	;; [unrolled: 2-line block ×4, first 2 shown]
	v_mul_f16_e64 v44, v92, v136
	v_mul_f16_e64 v45, v47, v136
	;; [unrolled: 1-line block ×4, first 2 shown]
	v_fmac_f16_e32 v39, v38, v30
	v_fma_f16 v30, v77, v30, -v41
	v_fmac_f16_e32 v42, v46, v31
	v_fma_f16 v31, v78, v31, -v43
	;; [unrolled: 2-line block ×3, first 2 shown]
	v_add_f16_e32 v43, v115, v117
	v_add_f16_e32 v51, v116, v118
	v_sub_f16_e32 v52, v16, v34
	v_add_f16_e32 v53, v14, v16
	v_add_f16_e32 v16, v16, v34
	v_sub_f16_e32 v62, v20, v35
	;; [unrolled: 3-line block ×3, first 2 shown]
	v_add_f16_e32 v77, v22, v24
	v_add_f16_e32 v24, v24, v36
	v_mul_f16_e32 v112, v57, v112
	v_fma_f16 v23, v74, v23, -v105
	v_fma_f16 v25, v87, v25, -v107
	v_fmac_f16_e64 v132, v57, v29
	v_fmac_f16_e32 v44, v47, v32
	v_fma_f16 v32, v92, v32, -v45
	v_fmac_f16_e32 v48, v58, v33
	v_fma_f16 v33, v93, v33, -v49
	v_add_f16_e32 v41, v64, v115
	v_sub_f16_e32 v45, v15, v17
	v_add_f16_e32 v46, v66, v15
	v_add_f16_e32 v49, v114, v116
	v_sub_f16_e32 v54, v116, v118
	v_add_f16_e32 v55, v9, v120
	;; [unrolled: 3-line block ×3, first 2 shown]
	v_add_f16_e32 v19, v19, v21
	v_add_f16_e32 v60, v119, v121
	;; [unrolled: 1-line block ×3, first 2 shown]
	v_sub_f16_e32 v65, v121, v123
	v_add_f16_e32 v68, v125, v127
	v_add_f16_e64 v75, v126, v128
	v_sub_f16_e64 v78, v126, v128
	v_sub_f16_e32 v86, v28, v37
	v_add_f16_e32 v87, v26, v28
	v_add_f16_e32 v28, v28, v37
	v_fmac_f16_e32 v64, -0.5, v43
	v_fmac_f16_e32 v114, -0.5, v51
	;; [unrolled: 1-line block ×5, first 2 shown]
	v_fma_f16 v29, v90, v29, -v112
	v_add_f16_e32 v15, v15, v17
	v_add_f16_e32 v67, v10, v125
	v_sub_f16_e32 v70, v23, v25
	v_add_f16_e32 v71, v72, v23
	v_add_f16_e32 v23, v23, v25
	;; [unrolled: 1-line block ×3, first 2 shown]
	v_add_f16_e64 v85, v131, v133
	v_sub_f16_e64 v88, v131, v133
	v_add_f16_e32 v17, v46, v17
	v_add_f16_e32 v16, v55, v122
	v_fma_f16 v9, -0.5, v56, v9
	v_add_f16_e32 v21, v58, v21
	v_fmac_f16_e32 v69, -0.5, v19
	v_add_f16_e32 v19, v60, v123
	v_fmac_f16_e32 v119, -0.5, v61
	;; [unrolled: 2-line block ×3, first 2 shown]
	v_fmac_f16_e32 v124, -0.5, v75
	v_fmac_f16_e32 v26, -0.5, v28
	v_fmamk_f16 v28, v45, 0xbaee, v64
	v_fmac_f16_e32 v64, 0x3aee, v45
	v_fmamk_f16 v45, v52, 0xbaee, v114
	v_fmac_f16_e32 v114, 0x3aee, v52
	v_fmamk_f16 v46, v54, 0x3aee, v14
	v_fmamk_f16 v52, v65, 0x3aee, v18
	;; [unrolled: 1-line block ×3, first 2 shown]
	v_fmac_f16_e32 v22, 0xbaee, v78
	v_sub_f16_e32 v47, v115, v117
	v_sub_f16_e32 v59, v120, v122
	;; [unrolled: 1-line block ×3, first 2 shown]
	v_add_f16_e64 v79, v7, v130
	v_sub_f16_e32 v81, v27, v29
	v_add_f16_e32 v82, v13, v27
	v_add_f16_e32 v27, v27, v29
	v_add_f16_e64 v84, v129, v131
	v_add_f16_e32 v41, v41, v117
	v_fmac_f16_e32 v66, -0.5, v15
	v_add_f16_e32 v15, v49, v118
	v_add_f16_e32 v34, v53, v34
	v_fmac_f16_e32 v72, -0.5, v23
	v_fmac_f16_e64 v129, -0.5, v85
	v_fmac_f16_e32 v14, 0xbaee, v54
	v_fmamk_f16 v51, v62, 0xbaee, v119
	v_fmac_f16_e32 v119, 0x3aee, v62
	v_fmac_f16_e32 v18, 0xbaee, v65
	v_add_f16_e32 v53, v16, v19
	v_add_f16_e32 v54, v21, v35
	v_sub_f16_e32 v16, v16, v19
	v_sub_f16_e32 v19, v21, v35
	v_fmamk_f16 v21, v70, 0xbaee, v10
	v_fmac_f16_e32 v10, 0x3aee, v70
	v_fmamk_f16 v55, v76, 0xbaee, v124
	v_fmac_f16_e32 v124, 0x3aee, v76
	;; [unrolled: 2-line block ×3, first 2 shown]
	v_mul_f16_e32 v62, 0xbaee, v46
	v_mul_f16_e32 v46, 0.5, v46
	v_mul_f16_e32 v65, 0xbaee, v52
	v_mul_f16_e32 v70, 0xbaee, v22
	v_sub_f16_e64 v83, v130, v132
	v_add_f16_e32 v20, v67, v127
	v_add_f16_e32 v25, v71, v25
	v_add_f16_e64 v23, v74, v128
	v_add_f16_e32 v36, v77, v36
	v_add_f16_e64 v24, v79, v132
	v_add_f16_e32 v29, v82, v29
	v_fmac_f16_e32 v13, -0.5, v27
	v_add_f16_e64 v27, v84, v133
	v_add_f16_e32 v37, v87, v37
	v_fmamk_f16 v43, v47, 0x3aee, v66
	v_fmac_f16_e32 v66, 0xbaee, v47
	v_add_f16_e32 v47, v41, v15
	v_add_f16_e32 v49, v17, v34
	v_sub_f16_e32 v15, v41, v15
	v_sub_f16_e32 v17, v17, v34
	v_fmamk_f16 v34, v57, 0xbaee, v9
	v_fmamk_f16 v41, v59, 0x3aee, v69
	v_fmac_f16_e32 v69, 0xbaee, v59
	v_fmamk_f16 v35, v73, 0x3aee, v72
	v_fmac_f16_e32 v72, 0xbaee, v73
	v_fma_f16 v59, 0xbaee, v86, v129
	v_fmac_f16_e64 v129, 0x3aee, v86
	v_mul_f16_e32 v68, 0xbaee, v56
	v_mul_f16_e32 v56, 0.5, v56
	v_mul_f16_e32 v73, 0xbaee, v26
	v_mul_f16_e32 v26, -0.5, v26
	v_fmac_f16_e32 v46, 0x3aee, v45
	v_fmac_f16_e32 v65, 0.5, v51
	v_fmac_f16_e32 v70, -0.5, v124
	v_fmac_f16_e32 v9, 0x3aee, v57
	v_add_f16_e32 v57, v20, v23
	v_add_f16_e32 v58, v25, v36
	v_sub_f16_e32 v20, v20, v23
	v_sub_f16_e32 v23, v25, v36
	v_fmamk_f16 v36, v83, 0x3aee, v13
	v_fmac_f16_e32 v13, 0xbaee, v83
	v_add_f16_e32 v61, v24, v27
	v_fmac_f16_e32 v68, 0.5, v55
	v_fmac_f16_e32 v56, 0x3aee, v55
	v_add_f16_e32 v55, v43, v46
	v_sub_f16_e32 v43, v43, v46
	v_add_f16_e32 v46, v34, v65
	v_sub_f16_e32 v34, v34, v65
	v_add_f16_e32 v65, v10, v70
	v_sub_f16_e32 v10, v10, v70
	v_fmac_f16_e64 v26, 0x3aee, v129
	v_add_f16_e32 v70, v29, v37
	v_sub_f16_e32 v24, v24, v27
	v_sub_f16_e32 v27, v29, v37
	v_add_f16_e32 v29, v42, v48
	v_mul_f16_e32 v63, 0xbaee, v14
	v_mul_f16_e32 v14, -0.5, v14
	v_mul_f16_e32 v67, 0xbaee, v18
	v_mul_f16_e32 v18, -0.5, v18
	v_mul_f16_e32 v22, -0.5, v22
	v_mul_f16_e32 v71, 0xbaee, v60
	v_mul_f16_e32 v60, 0.5, v60
	v_add_f16_e32 v74, v13, v26
	v_add_f16_e32 v37, v8, v42
	v_sub_f16_e32 v13, v13, v26
	v_add_f16_e32 v26, v31, v33
	v_fmac_f16_e32 v8, -0.5, v29
	v_sub_f16_e32 v29, v31, v33
	v_fmac_f16_e32 v14, 0x3aee, v114
	v_fmac_f16_e32 v18, 0x3aee, v119
	;; [unrolled: 1-line block ×4, first 2 shown]
	v_add_f16_e32 v31, v12, v31
	v_fmac_f16_e32 v12, -0.5, v26
	v_sub_f16_e32 v26, v42, v48
	v_fmamk_f16 v42, v29, 0xbaee, v8
	v_fmac_f16_e32 v8, 0x3aee, v29
	v_add_f16_e32 v29, v32, v38
	v_fmac_f16_e32 v71, 0.5, v59
	v_add_f16_e32 v59, v66, v14
	v_sub_f16_e32 v14, v66, v14
	v_add_f16_e32 v66, v69, v18
	v_sub_f16_e32 v18, v69, v18
	;; [unrolled: 2-line block ×4, first 2 shown]
	v_add_f16_e32 v37, v37, v48
	v_add_f16_e32 v48, v44, v50
	;; [unrolled: 1-line block ×3, first 2 shown]
	v_fmac_f16_e32 v30, -0.5, v29
	v_sub_f16_e32 v29, v44, v50
	v_add_f16_e64 v80, v130, v132
	v_add_f16_e32 v31, v31, v33
	v_fmamk_f16 v33, v26, 0x3aee, v12
	v_add_f16_e32 v44, v39, v44
	v_fmac_f16_e32 v39, -0.5, v48
	v_sub_f16_e32 v32, v32, v38
	v_fmac_f16_e32 v12, 0xbaee, v26
	v_fmamk_f16 v26, v29, 0x3aee, v30
	v_fmac_f16_e32 v30, 0xbaee, v29
	v_fma_f16 v7, -0.5, v80, v7
	v_mul_f16_e32 v52, 0.5, v52
	v_fmac_f16_e32 v63, -0.5, v114
	v_add_f16_e32 v29, v44, v50
	v_fmamk_f16 v44, v32, 0xbaee, v39
	v_fmac_f16_e32 v39, 0x3aee, v32
	v_mul_f16_e32 v32, 0xbaee, v26
	v_mul_f16_e32 v26, 0.5, v26
	v_fmac_f16_e32 v62, 0.5, v45
	v_mul_f16_e32 v48, 0xbaee, v30
	v_mul_f16_e32 v30, -0.5, v30
	v_fmamk_f16 v25, v81, 0xbaee, v7
	v_fmac_f16_e32 v67, -0.5, v119
	v_fmac_f16_e32 v52, 0x3aee, v51
	v_add_f16_e32 v51, v64, v63
	v_fmac_f16_e32 v26, 0x3aee, v44
	v_add_f16_e32 v45, v28, v62
	v_sub_f16_e32 v28, v28, v62
	v_sub_f16_e32 v62, v64, v63
	v_fmac_f16_e32 v7, 0x3aee, v81
	v_fmac_f16_e64 v73, -0.5, v129
	v_fmac_f16_e32 v30, 0x3aee, v39
	v_add_f16_e32 v63, v9, v67
	v_add_f16_e32 v64, v41, v52
	v_sub_f16_e32 v9, v9, v67
	v_sub_f16_e32 v41, v41, v52
	v_add_f16_e32 v52, v21, v68
	v_add_f16_e32 v67, v35, v56
	v_sub_f16_e32 v35, v35, v56
	v_add_f16_e32 v56, v25, v71
	v_sub_f16_e32 v25, v25, v71
	;; [unrolled: 2-line block ×3, first 2 shown]
	v_pack_b32_f16 v33, v51, v59
	v_pack_b32_f16 v15, v15, v17
	;; [unrolled: 1-line block ×4, first 2 shown]
	v_sub_f16_e32 v21, v21, v68
	v_add_f16_e32 v68, v7, v73
	v_sub_f16_e32 v7, v7, v73
	v_add_f16_e32 v73, v12, v30
	v_sub_f16_e32 v12, v12, v30
	v_pack_b32_f16 v30, v47, v49
	v_pack_b32_f16 v28, v53, v54
	v_add_f16_e32 v38, v60, v38
	ds_store_2addr_b32 v40, v33, v15 offset0:160 offset1:240
	ds_store_2addr_b32 v11, v17, v14 offset0:64 offset1:144
	ds_store_2addr_b32 v40, v30, v28 offset1:16
	v_pack_b32_f16 v11, v46, v64
	v_pack_b32_f16 v15, v52, v67
	v_fmac_f16_e32 v32, 0.5, v44
	v_add_f16_e32 v50, v37, v29
	v_add_f16_e32 v60, v31, v38
	v_pack_b32_f16 v14, v63, v66
	ds_store_2addr_b32 v2, v11, v15 offset0:96 offset1:112
	v_pack_b32_f16 v11, v65, v69
	v_fmac_f16_e32 v48, -0.5, v39
	v_pack_b32_f16 v16, v16, v19
	v_pack_b32_f16 v15, v20, v23
	v_add_nc_u32_e32 v19, 0x400, v2
	v_pack_b32_f16 v17, v34, v41
	v_pack_b32_f16 v20, v21, v35
	;; [unrolled: 1-line block ×6, first 2 shown]
	v_add_f16_e32 v39, v42, v32
	v_sub_f16_e32 v29, v37, v29
	v_pack_b32_f16 v37, v45, v55
	ds_store_2addr_b32 v2, v14, v11 offset0:176 offset1:192
	ds_store_2addr_b32 v19, v16, v15 offset1:16
	ds_store_2addr_b32 v19, v17, v20 offset0:80 offset1:96
	ds_store_2addr_b32 v19, v9, v10 offset0:160 offset1:176
	;; [unrolled: 1-line block ×3, first 2 shown]
	v_pack_b32_f16 v10, v50, v60
	v_add_f16_e32 v44, v8, v48
	v_sub_f16_e32 v31, v31, v38
	v_sub_f16_e32 v32, v42, v32
	;; [unrolled: 1-line block ×3, first 2 shown]
	v_pack_b32_f16 v9, v56, v72
	ds_store_2addr_b32 v40, v10, v37 offset0:64 offset1:80
	v_pack_b32_f16 v10, v39, v71
	v_pack_b32_f16 v11, v68, v74
	;; [unrolled: 1-line block ×9, first 2 shown]
	ds_store_2addr_b32 v2, v9, v10 offset0:128 offset1:144
	ds_store_2addr_b32 v2, v11, v13 offset0:208 offset1:224
	;; [unrolled: 1-line block ×5, first 2 shown]
	global_wb scope:SCOPE_SE
	s_wait_dscnt 0x0
	s_barrier_signal -1
	s_barrier_wait -1
	global_inv scope:SCOPE_SE
	s_and_saveexec_b32 s0, vcc_lo
	s_cbranch_execz .LBB0_25
; %bb.24:
	v_mul_lo_u32 v7, s3, v5
	v_mul_lo_u32 v8, s2, v6
	v_mad_co_u64_u32 v[5:6], null, s2, v5, 0
	v_mov_b32_e32 v2, 0
	v_lshlrev_b64_e32 v[3:4], 2, v[3:4]
	v_lshl_add_u32 v0, v1, 2, v0
	v_add_nc_u32_e32 v21, 0x60, v1
	v_add_nc_u32_e32 v23, 0x70, v1
	;; [unrolled: 1-line block ×3, first 2 shown]
	v_add3_u32 v6, v6, v8, v7
	v_add_nc_u32_e32 v7, 16, v1
	v_lshlrev_b64_e32 v[13:14], 2, v[1:2]
	v_dual_mov_b32 v8, v2 :: v_dual_add_nc_u32 v9, 32, v1
	s_delay_alu instid0(VALU_DEP_4)
	v_lshlrev_b64_e32 v[5:6], 2, v[5:6]
	v_mov_b32_e32 v10, v2
	ds_load_2addr_b32 v[11:12], v0 offset1:16
	v_mov_b32_e32 v18, v2
	ds_load_2addr_b32 v[19:20], v0 offset0:64 offset1:80
	v_mov_b32_e32 v22, v2
	v_add_co_u32 v15, vcc_lo, s6, v5
	s_wait_alu 0xfffd
	v_add_co_ci_u32_e32 v16, vcc_lo, s7, v6, vcc_lo
	v_lshlrev_b64_e32 v[5:6], 2, v[7:8]
	s_delay_alu instid0(VALU_DEP_3) | instskip(SKIP_1) | instid1(VALU_DEP_3)
	v_add_co_u32 v31, vcc_lo, v15, v3
	s_wait_alu 0xfffd
	v_add_co_ci_u32_e32 v32, vcc_lo, v16, v4, vcc_lo
	v_dual_mov_b32 v16, v2 :: v_dual_add_nc_u32 v17, 0x50, v1
	s_delay_alu instid0(VALU_DEP_3) | instskip(SKIP_1) | instid1(VALU_DEP_3)
	v_add_co_u32 v7, vcc_lo, v31, v13
	s_wait_alu 0xfffd
	v_add_co_ci_u32_e32 v8, vcc_lo, v32, v14, vcc_lo
	v_dual_mov_b32 v14, v2 :: v_dual_add_nc_u32 v13, 48, v1
	v_add_nc_u32_e32 v15, 64, v1
	v_lshlrev_b64_e32 v[3:4], 2, v[9:10]
	v_add_co_u32 v5, vcc_lo, v31, v5
	s_delay_alu instid0(VALU_DEP_4)
	v_lshlrev_b64_e32 v[13:14], 2, v[13:14]
	s_wait_alu 0xfffd
	v_add_co_ci_u32_e32 v6, vcc_lo, v32, v6, vcc_lo
	ds_load_2addr_b32 v[9:10], v0 offset0:32 offset1:48
	v_add_co_u32 v3, vcc_lo, v31, v3
	v_lshlrev_b64_e32 v[15:16], 2, v[15:16]
	s_wait_alu 0xfffd
	v_add_co_ci_u32_e32 v4, vcc_lo, v32, v4, vcc_lo
	v_add_co_u32 v13, vcc_lo, v31, v13
	v_lshlrev_b64_e32 v[17:18], 2, v[17:18]
	ds_load_2addr_b32 v[25:26], v0 offset0:96 offset1:112
	v_mov_b32_e32 v24, v2
	s_wait_alu 0xfffd
	v_add_co_ci_u32_e32 v14, vcc_lo, v32, v14, vcc_lo
	v_add_co_u32 v15, vcc_lo, v31, v15
	v_lshlrev_b64_e32 v[21:22], 2, v[21:22]
	s_wait_alu 0xfffd
	v_add_co_ci_u32_e32 v16, vcc_lo, v32, v16, vcc_lo
	v_add_co_u32 v17, vcc_lo, v31, v17
	v_lshlrev_b64_e32 v[23:24], 2, v[23:24]
	s_wait_alu 0xfffd
	v_add_co_ci_u32_e32 v18, vcc_lo, v32, v18, vcc_lo
	v_add_co_u32 v21, vcc_lo, v31, v21
	v_dual_mov_b32 v28, v2 :: v_dual_add_nc_u32 v29, 0x90, v1
	s_wait_alu 0xfffd
	v_add_co_ci_u32_e32 v22, vcc_lo, v32, v22, vcc_lo
	v_add_co_u32 v23, vcc_lo, v31, v23
	v_mov_b32_e32 v30, v2
	s_wait_alu 0xfffd
	v_add_co_ci_u32_e32 v24, vcc_lo, v32, v24, vcc_lo
	s_wait_dscnt 0x3
	s_clause 0x1
	global_store_b32 v[7:8], v11, off
	global_store_b32 v[5:6], v12, off
	s_wait_dscnt 0x1
	s_clause 0x3
	global_store_b32 v[3:4], v9, off
	global_store_b32 v[13:14], v10, off
	;; [unrolled: 1-line block ×4, first 2 shown]
	s_wait_dscnt 0x0
	s_clause 0x1
	global_store_b32 v[21:22], v25, off
	global_store_b32 v[23:24], v26, off
	v_add_nc_u32_e32 v9, 0xa0, v1
	v_lshlrev_b64_e32 v[3:4], 2, v[27:28]
	v_dual_mov_b32 v10, v2 :: v_dual_add_nc_u32 v13, 0xb0, v1
	v_lshlrev_b64_e32 v[7:8], 2, v[29:30]
	v_dual_mov_b32 v14, v2 :: v_dual_add_nc_u32 v15, 0xc0, v1
	s_delay_alu instid0(VALU_DEP_4) | instskip(NEXT) | instid1(VALU_DEP_4)
	v_add_co_u32 v3, vcc_lo, v31, v3
	v_lshlrev_b64_e32 v[9:10], 2, v[9:10]
	v_dual_mov_b32 v16, v2 :: v_dual_add_nc_u32 v17, 0xd0, v1
	s_wait_alu 0xfffd
	v_add_co_ci_u32_e32 v4, vcc_lo, v32, v4, vcc_lo
	ds_load_2addr_b32 v[5:6], v0 offset0:128 offset1:144
	v_add_co_u32 v7, vcc_lo, v31, v7
	v_lshlrev_b64_e32 v[13:14], 2, v[13:14]
	v_dual_mov_b32 v18, v2 :: v_dual_add_nc_u32 v21, 0xe0, v1
	s_wait_alu 0xfffd
	v_add_co_ci_u32_e32 v8, vcc_lo, v32, v8, vcc_lo
	ds_load_2addr_b32 v[11:12], v0 offset0:160 offset1:176
	v_add_co_u32 v9, vcc_lo, v31, v9
	v_lshlrev_b64_e32 v[15:16], 2, v[15:16]
	ds_load_2addr_b32 v[19:20], v0 offset0:192 offset1:208
	v_dual_mov_b32 v22, v2 :: v_dual_add_nc_u32 v23, 0xf0, v1
	s_wait_alu 0xfffd
	v_add_co_ci_u32_e32 v10, vcc_lo, v32, v10, vcc_lo
	v_add_co_u32 v13, vcc_lo, v31, v13
	v_lshlrev_b64_e32 v[17:18], 2, v[17:18]
	ds_load_2addr_b32 v[25:26], v0 offset0:224 offset1:240
	v_dual_mov_b32 v24, v2 :: v_dual_add_nc_u32 v27, 0x100, v1
	s_wait_alu 0xfffd
	v_add_co_ci_u32_e32 v14, vcc_lo, v32, v14, vcc_lo
	v_add_co_u32 v15, vcc_lo, v31, v15
	v_lshlrev_b64_e32 v[21:22], 2, v[21:22]
	s_wait_alu 0xfffd
	v_add_co_ci_u32_e32 v16, vcc_lo, v32, v16, vcc_lo
	v_add_co_u32 v17, vcc_lo, v31, v17
	v_lshlrev_b64_e32 v[23:24], 2, v[23:24]
	s_wait_alu 0xfffd
	v_add_co_ci_u32_e32 v18, vcc_lo, v32, v18, vcc_lo
	v_add_co_u32 v21, vcc_lo, v31, v21
	s_wait_alu 0xfffd
	v_add_co_ci_u32_e32 v22, vcc_lo, v32, v22, vcc_lo
	v_add_co_u32 v23, vcc_lo, v31, v23
	v_add_nc_u32_e32 v29, 0x110, v1
	s_wait_alu 0xfffd
	v_add_co_ci_u32_e32 v24, vcc_lo, v32, v24, vcc_lo
	s_wait_dscnt 0x3
	s_clause 0x1
	global_store_b32 v[3:4], v5, off
	global_store_b32 v[7:8], v6, off
	s_wait_dscnt 0x2
	s_clause 0x1
	global_store_b32 v[9:10], v11, off
	global_store_b32 v[13:14], v12, off
	;; [unrolled: 4-line block ×4, first 2 shown]
	v_mov_b32_e32 v10, v2
	v_lshlrev_b64_e32 v[3:4], 2, v[27:28]
	v_dual_mov_b32 v12, v2 :: v_dual_add_nc_u32 v9, 0x120, v1
	v_lshlrev_b64_e32 v[7:8], 2, v[29:30]
	v_add_nc_u32_e32 v0, 0x400, v0
	v_dual_mov_b32 v16, v2 :: v_dual_add_nc_u32 v11, 0x130, v1
	v_add_co_u32 v3, vcc_lo, v31, v3
	v_lshlrev_b64_e32 v[9:10], 2, v[9:10]
	v_dual_mov_b32 v20, v2 :: v_dual_add_nc_u32 v15, 0x140, v1
	s_wait_alu 0xfffd
	v_add_co_ci_u32_e32 v4, vcc_lo, v32, v4, vcc_lo
	ds_load_2addr_b32 v[5:6], v0 offset1:16
	v_add_co_u32 v7, vcc_lo, v31, v7
	v_lshlrev_b64_e32 v[11:12], 2, v[11:12]
	v_dual_mov_b32 v22, v2 :: v_dual_add_nc_u32 v19, 0x150, v1
	s_wait_alu 0xfffd
	v_add_co_ci_u32_e32 v8, vcc_lo, v32, v8, vcc_lo
	ds_load_2addr_b32 v[13:14], v0 offset0:32 offset1:48
	v_add_co_u32 v9, vcc_lo, v31, v9
	v_lshlrev_b64_e32 v[15:16], 2, v[15:16]
	ds_load_2addr_b32 v[17:18], v0 offset0:64 offset1:80
	v_dual_mov_b32 v26, v2 :: v_dual_add_nc_u32 v21, 0x160, v1
	s_wait_alu 0xfffd
	v_add_co_ci_u32_e32 v10, vcc_lo, v32, v10, vcc_lo
	v_add_co_u32 v11, vcc_lo, v31, v11
	v_lshlrev_b64_e32 v[19:20], 2, v[19:20]
	ds_load_2addr_b32 v[23:24], v0 offset0:96 offset1:112
	v_add_nc_u32_e32 v25, 0x170, v1
	s_wait_alu 0xfffd
	v_add_co_ci_u32_e32 v12, vcc_lo, v32, v12, vcc_lo
	v_add_co_u32 v15, vcc_lo, v31, v15
	v_lshlrev_b64_e32 v[21:22], 2, v[21:22]
	s_wait_alu 0xfffd
	v_add_co_ci_u32_e32 v16, vcc_lo, v32, v16, vcc_lo
	v_add_co_u32 v19, vcc_lo, v31, v19
	v_lshlrev_b64_e32 v[25:26], 2, v[25:26]
	s_wait_alu 0xfffd
	v_add_co_ci_u32_e32 v20, vcc_lo, v32, v20, vcc_lo
	v_add_co_u32 v21, vcc_lo, v31, v21
	s_wait_alu 0xfffd
	v_add_co_ci_u32_e32 v22, vcc_lo, v32, v22, vcc_lo
	v_add_nc_u32_e32 v27, 0x180, v1
	v_add_co_u32 v25, vcc_lo, v31, v25
	s_wait_alu 0xfffd
	v_add_co_ci_u32_e32 v26, vcc_lo, v32, v26, vcc_lo
	s_wait_dscnt 0x3
	s_clause 0x1
	global_store_b32 v[3:4], v5, off
	global_store_b32 v[7:8], v6, off
	s_wait_dscnt 0x2
	s_clause 0x1
	global_store_b32 v[9:10], v13, off
	global_store_b32 v[11:12], v14, off
	;; [unrolled: 4-line block ×4, first 2 shown]
	v_dual_mov_b32 v10, v2 :: v_dual_add_nc_u32 v5, 0x190, v1
	v_mov_b32_e32 v12, v2
	v_mov_b32_e32 v6, v2
	v_lshlrev_b64_e32 v[27:28], 2, v[27:28]
	v_dual_mov_b32 v16, v2 :: v_dual_add_nc_u32 v9, 0x1a0, v1
	ds_load_2addr_b32 v[3:4], v0 offset0:128 offset1:144
	v_lshlrev_b64_e32 v[5:6], 2, v[5:6]
	v_add_nc_u32_e32 v11, 0x1b0, v1
	ds_load_2addr_b32 v[13:14], v0 offset0:160 offset1:176
	v_add_co_u32 v7, vcc_lo, v31, v27
	v_lshlrev_b64_e32 v[9:10], 2, v[9:10]
	v_add_nc_u32_e32 v15, 0x1c0, v1
	ds_load_2addr_b32 v[17:18], v0 offset0:192 offset1:208
	s_wait_alu 0xfffd
	v_add_co_ci_u32_e32 v8, vcc_lo, v32, v28, vcc_lo
	v_add_co_u32 v5, vcc_lo, v31, v5
	v_lshlrev_b64_e32 v[11:12], 2, v[11:12]
	v_add_nc_u32_e32 v1, 0x1d0, v1
	s_wait_alu 0xfffd
	v_add_co_ci_u32_e32 v6, vcc_lo, v32, v6, vcc_lo
	v_add_co_u32 v9, vcc_lo, v31, v9
	v_lshlrev_b64_e32 v[15:16], 2, v[15:16]
	s_wait_alu 0xfffd
	v_add_co_ci_u32_e32 v10, vcc_lo, v32, v10, vcc_lo
	v_add_co_u32 v11, vcc_lo, v31, v11
	v_lshlrev_b64_e32 v[0:1], 2, v[1:2]
	s_wait_alu 0xfffd
	v_add_co_ci_u32_e32 v12, vcc_lo, v32, v12, vcc_lo
	v_add_co_u32 v15, vcc_lo, v31, v15
	s_wait_alu 0xfffd
	v_add_co_ci_u32_e32 v16, vcc_lo, v32, v16, vcc_lo
	v_add_co_u32 v0, vcc_lo, v31, v0
	s_wait_alu 0xfffd
	v_add_co_ci_u32_e32 v1, vcc_lo, v32, v1, vcc_lo
	s_wait_dscnt 0x2
	s_clause 0x1
	global_store_b32 v[7:8], v3, off
	global_store_b32 v[5:6], v4, off
	s_wait_dscnt 0x1
	s_clause 0x1
	global_store_b32 v[9:10], v13, off
	global_store_b32 v[11:12], v14, off
	;; [unrolled: 4-line block ×3, first 2 shown]
.LBB0_25:
	s_nop 0
	s_sendmsg sendmsg(MSG_DEALLOC_VGPRS)
	s_endpgm
	.section	.rodata,"a",@progbits
	.p2align	6, 0x0
	.amdhsa_kernel fft_rtc_back_len480_factors_10_8_6_wgs_64_tpt_16_halfLds_half_op_CI_CI_unitstride_sbrr_C2R_dirReg
		.amdhsa_group_segment_fixed_size 0
		.amdhsa_private_segment_fixed_size 0
		.amdhsa_kernarg_size 104
		.amdhsa_user_sgpr_count 2
		.amdhsa_user_sgpr_dispatch_ptr 0
		.amdhsa_user_sgpr_queue_ptr 0
		.amdhsa_user_sgpr_kernarg_segment_ptr 1
		.amdhsa_user_sgpr_dispatch_id 0
		.amdhsa_user_sgpr_private_segment_size 0
		.amdhsa_wavefront_size32 1
		.amdhsa_uses_dynamic_stack 0
		.amdhsa_enable_private_segment 0
		.amdhsa_system_sgpr_workgroup_id_x 1
		.amdhsa_system_sgpr_workgroup_id_y 0
		.amdhsa_system_sgpr_workgroup_id_z 0
		.amdhsa_system_sgpr_workgroup_info 0
		.amdhsa_system_vgpr_workitem_id 0
		.amdhsa_next_free_vgpr 139
		.amdhsa_next_free_sgpr 39
		.amdhsa_reserve_vcc 1
		.amdhsa_float_round_mode_32 0
		.amdhsa_float_round_mode_16_64 0
		.amdhsa_float_denorm_mode_32 3
		.amdhsa_float_denorm_mode_16_64 3
		.amdhsa_fp16_overflow 0
		.amdhsa_workgroup_processor_mode 1
		.amdhsa_memory_ordered 1
		.amdhsa_forward_progress 0
		.amdhsa_round_robin_scheduling 0
		.amdhsa_exception_fp_ieee_invalid_op 0
		.amdhsa_exception_fp_denorm_src 0
		.amdhsa_exception_fp_ieee_div_zero 0
		.amdhsa_exception_fp_ieee_overflow 0
		.amdhsa_exception_fp_ieee_underflow 0
		.amdhsa_exception_fp_ieee_inexact 0
		.amdhsa_exception_int_div_zero 0
	.end_amdhsa_kernel
	.text
.Lfunc_end0:
	.size	fft_rtc_back_len480_factors_10_8_6_wgs_64_tpt_16_halfLds_half_op_CI_CI_unitstride_sbrr_C2R_dirReg, .Lfunc_end0-fft_rtc_back_len480_factors_10_8_6_wgs_64_tpt_16_halfLds_half_op_CI_CI_unitstride_sbrr_C2R_dirReg
                                        ; -- End function
	.section	.AMDGPU.csdata,"",@progbits
; Kernel info:
; codeLenInByte = 16068
; NumSgprs: 41
; NumVgprs: 139
; ScratchSize: 0
; MemoryBound: 0
; FloatMode: 240
; IeeeMode: 1
; LDSByteSize: 0 bytes/workgroup (compile time only)
; SGPRBlocks: 5
; VGPRBlocks: 17
; NumSGPRsForWavesPerEU: 41
; NumVGPRsForWavesPerEU: 139
; Occupancy: 10
; WaveLimiterHint : 1
; COMPUTE_PGM_RSRC2:SCRATCH_EN: 0
; COMPUTE_PGM_RSRC2:USER_SGPR: 2
; COMPUTE_PGM_RSRC2:TRAP_HANDLER: 0
; COMPUTE_PGM_RSRC2:TGID_X_EN: 1
; COMPUTE_PGM_RSRC2:TGID_Y_EN: 0
; COMPUTE_PGM_RSRC2:TGID_Z_EN: 0
; COMPUTE_PGM_RSRC2:TIDIG_COMP_CNT: 0
	.text
	.p2alignl 7, 3214868480
	.fill 96, 4, 3214868480
	.type	__hip_cuid_bbbdf046ca6591f4,@object ; @__hip_cuid_bbbdf046ca6591f4
	.section	.bss,"aw",@nobits
	.globl	__hip_cuid_bbbdf046ca6591f4
__hip_cuid_bbbdf046ca6591f4:
	.byte	0                               ; 0x0
	.size	__hip_cuid_bbbdf046ca6591f4, 1

	.ident	"AMD clang version 19.0.0git (https://github.com/RadeonOpenCompute/llvm-project roc-6.4.0 25133 c7fe45cf4b819c5991fe208aaa96edf142730f1d)"
	.section	".note.GNU-stack","",@progbits
	.addrsig
	.addrsig_sym __hip_cuid_bbbdf046ca6591f4
	.amdgpu_metadata
---
amdhsa.kernels:
  - .args:
      - .actual_access:  read_only
        .address_space:  global
        .offset:         0
        .size:           8
        .value_kind:     global_buffer
      - .offset:         8
        .size:           8
        .value_kind:     by_value
      - .actual_access:  read_only
        .address_space:  global
        .offset:         16
        .size:           8
        .value_kind:     global_buffer
      - .actual_access:  read_only
        .address_space:  global
        .offset:         24
        .size:           8
        .value_kind:     global_buffer
      - .actual_access:  read_only
        .address_space:  global
        .offset:         32
        .size:           8
        .value_kind:     global_buffer
      - .offset:         40
        .size:           8
        .value_kind:     by_value
      - .actual_access:  read_only
        .address_space:  global
        .offset:         48
        .size:           8
        .value_kind:     global_buffer
      - .actual_access:  read_only
        .address_space:  global
        .offset:         56
        .size:           8
        .value_kind:     global_buffer
      - .offset:         64
        .size:           4
        .value_kind:     by_value
      - .actual_access:  read_only
        .address_space:  global
        .offset:         72
        .size:           8
        .value_kind:     global_buffer
      - .actual_access:  read_only
        .address_space:  global
        .offset:         80
        .size:           8
        .value_kind:     global_buffer
      - .actual_access:  read_only
        .address_space:  global
        .offset:         88
        .size:           8
        .value_kind:     global_buffer
      - .actual_access:  write_only
        .address_space:  global
        .offset:         96
        .size:           8
        .value_kind:     global_buffer
    .group_segment_fixed_size: 0
    .kernarg_segment_align: 8
    .kernarg_segment_size: 104
    .language:       OpenCL C
    .language_version:
      - 2
      - 0
    .max_flat_workgroup_size: 64
    .name:           fft_rtc_back_len480_factors_10_8_6_wgs_64_tpt_16_halfLds_half_op_CI_CI_unitstride_sbrr_C2R_dirReg
    .private_segment_fixed_size: 0
    .sgpr_count:     41
    .sgpr_spill_count: 0
    .symbol:         fft_rtc_back_len480_factors_10_8_6_wgs_64_tpt_16_halfLds_half_op_CI_CI_unitstride_sbrr_C2R_dirReg.kd
    .uniform_work_group_size: 1
    .uses_dynamic_stack: false
    .vgpr_count:     139
    .vgpr_spill_count: 0
    .wavefront_size: 32
    .workgroup_processor_mode: 1
amdhsa.target:   amdgcn-amd-amdhsa--gfx1201
amdhsa.version:
  - 1
  - 2
...

	.end_amdgpu_metadata
